;; amdgpu-corpus repo=ROCm/aiter kind=harvested arch=n/a opt=n/a

/root/src/amdgpu-assembly/repos/ROCm__aiter/hsa/gfx950/fmoe_2stages/fmoe_stage1_bf16_pertokenFp8_blockscale_g1u1_16x512_pf3.co:	file format elf64-amdgpu

Disassembly of section .text:

0000000000002a00 <_ZN5aiter55fmoe_stage1_bf16_pertokenFp8_blockscale_g1u1_16x512_pf3E>:
	s_and_b32 s1, s1, 0xffff                                   // 000000002A00: 8601FF01 0000FFFF
	s_load_dwordx2 s[8:9], s[0:1], 0x0                         // 000000002A08: C0060200 00000000
	s_load_dwordx2 s[20:21], s[0:1], 0x10                      // 000000002A10: C0060500 00000010
	s_load_dwordx2 s[24:25], s[0:1], 0x20                      // 000000002A18: C0060600 00000020
	s_load_dwordx2 s[48:49], s[0:1], 0x30                      // 000000002A20: C0060C00 00000030
	s_load_dwordx2 s[28:29], s[0:1], 0x40                      // 000000002A28: C0060700 00000040
	s_load_dwordx2 s[32:33], s[0:1], 0x50                      // 000000002A30: C0060800 00000050
	s_load_dwordx2 s[36:37], s[0:1], 0x60                      // 000000002A38: C0060900 00000060
	s_load_dwordx2 s[12:13], s[0:1], 0x70                      // 000000002A40: C0060300 00000070
	s_load_dwordx2 s[44:45], s[0:1], 0x80                      // 000000002A48: C0060B00 00000080
	s_mov_b32 s89, 0                                           // 000000002A50: BED90080
	s_load_dword s64, s[0:1], 0x90                             // 000000002A54: C0021000 00000090
	s_load_dword s65, s[0:1], 0xa0                             // 000000002A5C: C0021040 000000A0
	s_load_dword s66, s[0:1], 0xb0                             // 000000002A64: C0021080 000000B0
	s_load_dword s67, s[0:1], 0xc0                             // 000000002A6C: C00210C0 000000C0
	s_load_dword s68, s[0:1], 0xd0                             // 000000002A74: C0021100 000000D0
	s_load_dword s69, s[0:1], 0xe0                             // 000000002A7C: C0021140 000000E0
	s_load_dword s71, s[0:1], 0xf0                             // 000000002A84: C00211C0 000000F0
	s_load_dword s72, s[0:1], 0x100                            // 000000002A8C: C0021200 00000100
	s_load_dword s74, s[0:1], 0x110                            // 000000002A94: C0021280 00000110
	s_load_dword s76, s[0:1], 0x120                            // 000000002A9C: C0021300 00000120
	s_load_dword s56, s[0:1], 0x130                            // 000000002AA4: C0020E00 00000130
	s_load_dword s88, s[0:1], 0x140                            // 000000002AAC: C0021600 00000140
	s_load_dword s89, s[0:1], 0x150                            // 000000002AB4: C0021640 00000150
	v_lshrrev_b32_e32 v1, 10, v0                               // 000000002ABC: 2002008A
	v_lshrrev_b32_e32 v2, 10, v1                               // 000000002AC0: 2004028A
	v_and_b32_e32 v2, 0x3ff, v2                                // 000000002AC4: 260404FF 000003FF
	v_and_b32_e32 v1, 0x3ff, v1                                // 000000002ACC: 260202FF 000003FF
	v_and_b32_e32 v0, 0x3ff, v0                                // 000000002AD4: 260000FF 000003FF
	v_lshrrev_b32_e32 v3, 6, v0                                // 000000002ADC: 20060086
	v_and_b32_e32 v0, 63, v0                                   // 000000002AE0: 260000BF
	s_mov_b32 s2, s2                                           // 000000002AE4: BE820002
	s_mov_b32 s3, s3                                           // 000000002AE8: BE830003
	s_mov_b32 s4, s4                                           // 000000002AEC: BE840004
	v_readfirstlane_b32 s7, v3                                 // 000000002AF0: 7E0E0503
	s_waitcnt lgkmcnt(0)                                       // 000000002AF4: BF8CC07F
	s_and_b32 s49, s49, 0xffff                                 // 000000002AF8: 8631FF31 0000FFFF
	s_load_dword s48, s[48:49], 0x0                            // 000000002B00: C0020C18 00000000
	s_and_b32 s45, s45, 0xffff                                 // 000000002B08: 862DFF2D 0000FFFF
	s_and_b32 s9, s9, 0xffff                                   // 000000002B10: 8609FF09 0000FFFF
	s_mul_i32 s60, s66, s68                                    // 000000002B18: 923C4442
	s_mul_i32 s61, s66, 4                                      // 000000002B1C: 923D8442
	s_mov_b32 s22, s60                                         // 000000002B20: BE96003C
	s_mov_b32 s26, -16                                         // 000000002B24: BE9A00D0
	s_mov_b32 s30, s61                                         // 000000002B28: BE9E003D
	s_mov_b32 s14, 64                                          // 000000002B2C: BE8E00C0
	s_mov_b32 s38, -16                                         // 000000002B30: BEA600D0
	s_mov_b32 s10, -16                                         // 000000002B34: BE8A00D0
	s_lshr_b32 s60, s64, 7                                     // 000000002B38: 8F3C8740
	s_mul_i32 s61, s60, 4                                      // 000000002B3C: 923D843C
	s_lshr_b32 s60, s65, 7                                     // 000000002B40: 8F3C8741
	s_add_u32 s60, s60, 4                                      // 000000002B44: 803C843C
	s_mul_i32 s60, s60, s61                                    // 000000002B48: 923C3D3C
	s_mov_b32 s34, s60                                         // 000000002B4C: BEA2003C
	s_mov_b32 s23, 0x20000                                     // 000000002B50: BE9700FF 00020000
	s_mov_b32 s27, 0x20000                                     // 000000002B58: BE9B00FF 00020000
	s_mov_b32 s31, 0x20000                                     // 000000002B60: BE9F00FF 00020000
	s_mov_b32 s35, 0x20000                                     // 000000002B68: BEA300FF 00020000
	s_mov_b32 s15, 0x20000                                     // 000000002B70: BE8F00FF 00020000
	s_mov_b32 s39, 0x20000                                     // 000000002B78: BEA700FF 00020000
	s_mov_b32 s11, 0x20000                                     // 000000002B80: BE8B00FF 00020000
	s_and_b32 s21, s21, 0xffff                                 // 000000002B88: 8615FF15 0000FFFF
	s_and_b32 s25, s25, 0xffff                                 // 000000002B90: 8619FF19 0000FFFF
	s_and_b32 s29, s29, 0xffff                                 // 000000002B98: 861DFF1D 0000FFFF
	s_and_b32 s33, s33, 0xffff                                 // 000000002BA0: 8621FF21 0000FFFF
	s_and_b32 s13, s13, 0xffff                                 // 000000002BA8: 860DFF0D 0000FFFF
	s_and_b32 s37, s37, 0xffff                                 // 000000002BB0: 8625FF25 0000FFFF
	s_or_b32 s21, s21, 0x40000                                 // 000000002BB8: 8715FF15 00040000
	s_or_b32 s25, s25, 0x40000                                 // 000000002BC0: 8719FF19 00040000
	s_or_b32 s29, s29, 0x40000                                 // 000000002BC8: 871DFF1D 00040000
	s_or_b32 s33, s33, 0x40000                                 // 000000002BD0: 8721FF21 00040000
	s_or_b32 s13, s13, 0x40000                                 // 000000002BD8: 870DFF0D 00040000
	s_or_b32 s37, s37, 0x40000                                 // 000000002BE0: 8725FF25 00040000
	v_accvgpr_write_b32 a207, 0                                // 000000002BE8: D3D940CF 18000080
	v_mov_b32_e32 v107, 0                                      // 000000002BF0: 7ED60280
	s_waitcnt lgkmcnt(0)                                       // 000000002BF4: BF8CC07F
	s_mul_i32 s60, s3, 16                                      // 000000002BF8: 923C9003
	s_cmp_lt_i32 s60, s48                                      // 000000002BFC: BF04303C
	s_cbranch_scc0 label_2111                                  // 000000002C00: BF84208D
	s_mov_b32 s80, 0                                           // 000000002C04: BED00080
	s_lshr_b32 s81, s64, s88                                   // 000000002C08: 8F515840
	s_mul_i32 s60, s3, 4                                       // 000000002C0C: 923C8403
	s_add_u32 s44, s60, s44                                    // 000000002C10: 802C2C3C
	s_addc_u32 s45, 0, s45                                     // 000000002C14: 822D2D80
	s_load_dword s5, s[44:45], 0x0                             // 000000002C18: C0020156 00000000
	s_mul_i32 s60, s3, 16                                      // 000000002C20: 923C9003
	s_mul_i32 s60, 4, s60                                      // 000000002C24: 923C3C84
	s_add_u32 s12, s60, s12                                    // 000000002C28: 800C0C3C
	s_addc_u32 s13, 0, s13                                     // 000000002C2C: 820D0D80
	v_and_b32_e32 v4, 15, v0                                   // 000000002C30: 2608008F
	v_lshlrev_b32_e32 v4, 2, v4                                // 000000002C34: 24080882
	buffer_load_dword v30, v4, s[12:15], 0 offen               // 000000002C38: E0501000 80031E04
	v_add_u32_e32 v4, 64, v4                                   // 000000002C40: 680808C0
	s_mul_i32 s60, 4, s7                                       // 000000002C44: 923C0784
	v_lshlrev_b32_e32 v4, 4, v0                                // 000000002C48: 24080084
	v_add_u32_e32 v4, s60, v4                                  // 000000002C4C: 6808083C
	buffer_load_dword v3, v4, s[12:15], 0 offen                // 000000002C50: E0501000 80030304
	v_mov_b32_e32 v44, 0                                       // 000000002C58: 7E580280
	v_mov_b32_e32 v76, 0                                       // 000000002C5C: 7E980280
	v_mov_b32_e32 v45, 0                                       // 000000002C60: 7E5A0280
	v_mov_b32_e32 v77, 0                                       // 000000002C64: 7E9A0280
	v_mov_b32_e32 v46, 0                                       // 000000002C68: 7E5C0280
	v_mov_b32_e32 v78, 0                                       // 000000002C6C: 7E9C0280
	v_mov_b32_e32 v47, 0                                       // 000000002C70: 7E5E0280
	v_mov_b32_e32 v79, 0                                       // 000000002C74: 7E9E0280
	v_mov_b32_e32 v48, 0                                       // 000000002C78: 7E600280
	v_mov_b32_e32 v80, 0                                       // 000000002C7C: 7EA00280
	v_mov_b32_e32 v49, 0                                       // 000000002C80: 7E620280
	v_mov_b32_e32 v81, 0                                       // 000000002C84: 7EA20280
	v_mov_b32_e32 v50, 0                                       // 000000002C88: 7E640280
	v_mov_b32_e32 v82, 0                                       // 000000002C8C: 7EA40280
	v_mov_b32_e32 v51, 0                                       // 000000002C90: 7E660280
	v_mov_b32_e32 v83, 0                                       // 000000002C94: 7EA60280
	v_mov_b32_e32 v52, 0                                       // 000000002C98: 7E680280
	v_mov_b32_e32 v84, 0                                       // 000000002C9C: 7EA80280
	v_mov_b32_e32 v53, 0                                       // 000000002CA0: 7E6A0280
	v_mov_b32_e32 v85, 0                                       // 000000002CA4: 7EAA0280
	v_mov_b32_e32 v54, 0                                       // 000000002CA8: 7E6C0280
	v_mov_b32_e32 v86, 0                                       // 000000002CAC: 7EAC0280
	v_mov_b32_e32 v55, 0                                       // 000000002CB0: 7E6E0280
	v_mov_b32_e32 v87, 0                                       // 000000002CB4: 7EAE0280
	v_mov_b32_e32 v56, 0                                       // 000000002CB8: 7E700280
	v_mov_b32_e32 v88, 0                                       // 000000002CBC: 7EB00280
	v_mov_b32_e32 v57, 0                                       // 000000002CC0: 7E720280
	v_mov_b32_e32 v89, 0                                       // 000000002CC4: 7EB20280
	v_mov_b32_e32 v58, 0                                       // 000000002CC8: 7E740280
	v_mov_b32_e32 v90, 0                                       // 000000002CCC: 7EB40280
	v_mov_b32_e32 v59, 0                                       // 000000002CD0: 7E760280
	v_mov_b32_e32 v91, 0                                       // 000000002CD4: 7EB60280
	v_mov_b32_e32 v60, 0                                       // 000000002CD8: 7E780280
	v_mov_b32_e32 v92, 0                                       // 000000002CDC: 7EB80280
	v_mov_b32_e32 v61, 0                                       // 000000002CE0: 7E7A0280
	v_mov_b32_e32 v93, 0                                       // 000000002CE4: 7EBA0280
	v_mov_b32_e32 v62, 0                                       // 000000002CE8: 7E7C0280
	v_mov_b32_e32 v94, 0                                       // 000000002CEC: 7EBC0280
	v_mov_b32_e32 v63, 0                                       // 000000002CF0: 7E7E0280
	v_mov_b32_e32 v95, 0                                       // 000000002CF4: 7EBE0280
	v_mov_b32_e32 v64, 0                                       // 000000002CF8: 7E800280
	v_mov_b32_e32 v96, 0                                       // 000000002CFC: 7EC00280
	v_mov_b32_e32 v65, 0                                       // 000000002D00: 7E820280
	v_mov_b32_e32 v97, 0                                       // 000000002D04: 7EC20280
	v_mov_b32_e32 v66, 0                                       // 000000002D08: 7E840280
	v_mov_b32_e32 v98, 0                                       // 000000002D0C: 7EC40280
	v_mov_b32_e32 v67, 0                                       // 000000002D10: 7E860280
	v_mov_b32_e32 v99, 0                                       // 000000002D14: 7EC60280
	v_mov_b32_e32 v68, 0                                       // 000000002D18: 7E880280
	v_mov_b32_e32 v100, 0                                      // 000000002D1C: 7EC80280
	v_mov_b32_e32 v69, 0                                       // 000000002D20: 7E8A0280
	v_mov_b32_e32 v101, 0                                      // 000000002D24: 7ECA0280
	v_mov_b32_e32 v70, 0                                       // 000000002D28: 7E8C0280
	v_mov_b32_e32 v102, 0                                      // 000000002D2C: 7ECC0280
	v_mov_b32_e32 v71, 0                                       // 000000002D30: 7E8E0280
	v_mov_b32_e32 v103, 0                                      // 000000002D34: 7ECE0280
	v_mov_b32_e32 v72, 0                                       // 000000002D38: 7E900280
	v_mov_b32_e32 v104, 0                                      // 000000002D3C: 7ED00280
	v_mov_b32_e32 v73, 0                                       // 000000002D40: 7E920280
	v_mov_b32_e32 v105, 0                                      // 000000002D44: 7ED20280
	v_mov_b32_e32 v74, 0                                       // 000000002D48: 7E940280
	v_mov_b32_e32 v106, 0                                      // 000000002D4C: 7ED40280
	v_mov_b32_e32 v75, 0                                       // 000000002D50: 7E960280
	v_mov_b32_e32 v107, 0                                      // 000000002D54: 7ED60280
	s_mul_i32 s60, s2, 0x200                                   // 000000002D58: 923CFF02 00000200
	s_cmp_eq_u32 s88, 0                                        // 000000002D60: BF068058
	s_cselect_b32 s61, 1, 4                                    // 000000002D64: 853D8481
	s_mul_i32 s60, s60, s61                                    // 000000002D68: 923C3D3C
	s_mov_b32 s90, s8                                          // 000000002D6C: BEDA0008
	s_mov_b32 s91, s9                                          // 000000002D70: BEDB0009
	s_add_u32 s8, s60, s8                                      // 000000002D74: 8008083C
	s_addc_u32 s9, 0, s9                                       // 000000002D78: 82090980
	v_lshrrev_b32_e32 v4, 4, v0                                // 000000002D7C: 20080084
	v_mul_lo_u32 v20, 34, v4                                   // 000000002D80: D2850014 000208A2
	v_and_b32_e32 v4, 15, v0                                   // 000000002D88: 2608008F
	v_mul_lo_u32 v5, 2, v4                                     // 000000002D8C: D2850005 00020882
	v_add_u32_e32 v20, v5, v20                                 // 000000002D94: 68282905
	s_mul_i32 s60, s7, 0x88                                    // 000000002D98: 923CFF07 00000088
	v_add_u32_e32 v20, s60, v20                                // 000000002DA0: 6828283C
	v_lshlrev_b32_e32 v20, 2, v20                              // 000000002DA4: 24282882
	v_and_b32_e32 v4, 31, v0                                   // 000000002DA8: 2608009F
	v_lshrrev_b32_e32 v4, 1, v4                                // 000000002DAC: 20080881
	v_mul_lo_u32 v21, 34, v4                                   // 000000002DB0: D2850015 000208A2
	v_lshrrev_b32_e32 v4, 5, v0                                // 000000002DB8: 20080085
	v_mul_lo_u32 v4, 8, v4                                     // 000000002DBC: D2850004 00020888
	v_add_u32_e32 v21, v21, v4                                 // 000000002DC4: 682A0915
	v_and_b32_e32 v5, 1, v0                                    // 000000002DC8: 260A0081
	v_add_u32_e32 v21, v5, v21                                 // 000000002DCC: 682A2B05
	s_mul_i32 s60, s7, 2                                       // 000000002DD0: 923C8207
	v_add_u32_e32 v21, s60, v21                                // 000000002DD4: 682A2A3C
	v_lshlrev_b32_e32 v21, 2, v21                              // 000000002DD8: 242A2A82
	s_mul_i32 s60, s7, 0x220                                   // 000000002DDC: 923CFF07 00000220
	s_add_u32 s48, 0, s60                                      // 000000002DE4: 80303C80
	s_add_u32 s49, 0x880, s48                                  // 000000002DE8: 803130FF 00000880
	s_add_u32 s50, 0x880, s49                                  // 000000002DF0: 803231FF 00000880
	v_lshrrev_b32_e32 v4, 4, v0                                // 000000002DF8: 20080084
	v_lshlrev_b32_e32 v5, 2, v4                                // 000000002DFC: 240A0882
	v_and_b32_e32 v4, 15, v0                                   // 000000002E00: 2608008F
	v_lshrrev_b32_e32 v6, 2, v4                                // 000000002E04: 200C0882
	v_lshlrev_b32_e32 v6, 5, v6                                // 000000002E08: 240C0C85
	v_add_u32_e32 v5, v6, v5                                   // 000000002E0C: 680A0B06
	v_and_b32_e32 v4, 3, v0                                    // 000000002E10: 26080083
	v_mul_u32_u24_e32 v6, 0x88, v4                             // 000000002E14: 100C08FF 00000088
	v_add_u32_e32 v5, v6, v5                                   // 000000002E1C: 680A0B06
	v_lshlrev_b32_e32 v2, 2, v5                                // 000000002E20: 24040A82
	s_waitcnt lgkmcnt(0)                                       // 000000002E24: BF8CC07F
	s_mul_i32 s60, s2, 0x200                                   // 000000002E28: 923CFF02 00000200
	s_mul_i32 s60, s60, s69                                    // 000000002E30: 923C453C
	s_mul_i32 s61, s5, s72                                     // 000000002E34: 923D4805
	s_add_u32 s60, s61, s60                                    // 000000002E38: 803C3C3D
	s_add_u32 s24, s60, s24                                    // 000000002E3C: 8018183C
	s_addc_u32 s25, 0, s25                                     // 000000002E40: 82191980
	s_lshr_b32 s60, s64, s88                                   // 000000002E44: 8F3C5840
	s_mul_i32 s60, s4, s60                                     // 000000002E48: 923C3C04
	s_lshr_b32 s60, s60, 7                                     // 000000002E4C: 8F3C873C
	s_mul_i32 s60, s60, 0x800                                  // 000000002E50: 923CFF3C 00000800
	s_add_u32 s24, s60, s24                                    // 000000002E58: 8018183C
	s_addc_u32 s25, 0, s25                                     // 000000002E5C: 82191980
	s_lshr_b32 s60, s69, s88                                   // 000000002E60: 8F3C5845
	s_mul_i32 s60, s4, s60                                     // 000000002E64: 923C3C04
	s_add_u32 s20, s60, s20                                    // 000000002E68: 8014143C
	s_addc_u32 s21, 0, s21                                     // 000000002E6C: 82151580
	s_mul_i32 s60, s7, 16                                      // 000000002E70: 923C9007
	s_mul_i32 s60, s60, s69                                    // 000000002E74: 923C453C
	v_lshlrev_b32_e32 v36, 4, v0                               // 000000002E78: 24480084
	v_add_u32_e32 v36, s60, v36                                // 000000002E7C: 6848483C
	s_mul_i32 s60, 64, s69                                     // 000000002E80: 923C45C0
	v_add_u32_e32 v37, s60, v36                                // 000000002E84: 684A483C
	v_add_u32_e32 v38, s60, v37                                // 000000002E88: 684C4A3C
	v_add_u32_e32 v39, s60, v38                                // 000000002E8C: 684E4C3C
	v_add_u32_e32 v40, s60, v39                                // 000000002E90: 68504E3C
	v_add_u32_e32 v41, s60, v40                                // 000000002E94: 6852503C
	v_add_u32_e32 v42, s60, v41                                // 000000002E98: 6854523C
	v_add_u32_e32 v43, s60, v42                                // 000000002E9C: 6856543C
	s_mov_b32 s84, s24                                         // 000000002EA0: BED40018
	s_mov_b32 s85, s25                                         // 000000002EA4: BED50019
	s_mov_b32 s86, s26                                         // 000000002EA8: BED6001A
	s_mov_b32 s87, s27                                         // 000000002EAC: BED7001B
	s_mul_i32 s60, s69, s65                                    // 000000002EB0: 923C4145
	s_add_u32 s84, s60, s84                                    // 000000002EB4: 8054543C
	s_addc_u32 s85, 0, s85                                     // 000000002EB8: 82555580
	s_lshr_b32 s60, s64, 7                                     // 000000002EBC: 8F3C8740
	s_mul_i32 s61, s60, 4                                      // 000000002EC0: 923D843C
	v_and_b32_e32 v22, 15, v0                                  // 000000002EC4: 262C008F
	v_mul_lo_u32 v22, v22, s61                                 // 000000002EC8: D2850016 00007B16
	s_lshr_b32 s60, s65, 7                                     // 000000002ED0: 8F3C8741
	s_mul_i32 s60, s60, s61                                    // 000000002ED4: 923C3D3C
	v_add_u32_e64 v23, v22, s60                                // 000000002ED8: D1340017 00007916
	s_mul_i32 s60, s2, 4                                       // 000000002EE0: 923C8402
	s_mul_i32 s60, s60, s61                                    // 000000002EE4: 923C3D3C
	s_mul_i32 s61, s5, s74                                     // 000000002EE8: 923D4A05
	s_add_u32 s61, s61, s60                                    // 000000002EEC: 803D3C3D
	s_add_u32 s32, s61, s32                                    // 000000002EF0: 8020203D
	s_addc_u32 s33, 0, s33                                     // 000000002EF4: 82212180
	s_lshr_b32 s60, s64, 7                                     // 000000002EF8: 8F3C8740
	s_lshr_b32 s60, s60, s88                                   // 000000002EFC: 8F3C583C
	s_mul_i32 s60, s4, s60                                     // 000000002F00: 923C3C04
	s_mul_i32 s61, s60, 4                                      // 000000002F04: 923D843C
	s_add_u32 s32, s61, s32                                    // 000000002F08: 8020203D
	s_addc_u32 s33, 0, s33                                     // 000000002F0C: 82212180
	s_lshl_b32 s62, s66, 2                                     // 000000002F10: 8E3E8242
	s_mul_i32 s62, s60, s62                                    // 000000002F14: 923E3E3C
	s_add_u32 s28, s62, s28                                    // 000000002F18: 801C1C3E
	s_addc_u32 s29, 0, s29                                     // 000000002F1C: 821D1D80
	s_mov_b32 s4, 4                                            // 000000002F20: BE840084
	s_mov_b32 s57, 0x80                                        // 000000002F24: BEB900FF 00000080
	s_mov_b32 s58, 0x800                                       // 000000002F2C: BEBA00FF 00000800
	s_mov_b32 s83, s58                                         // 000000002F34: BED3003A
	s_mov_b32 s52, 0x7060302                                   // 000000002F38: BEB400FF 07060302
	s_mov_b32 s53, 0x400                                       // 000000002F40: BEB500FF 00000400
	s_mov_b32 s54, 0x40100                                     // 000000002F48: BEB600FF 00040100
	s_mov_b32 s55, 0x4020100                                   // 000000002F50: BEB700FF 04020100
	s_mov_b32 s6, 0x3fb8aa3b                                   // 000000002F58: BE8600FF 3FB8AA3B
	s_mov_b32 s78, 0xbd92220c                                  // 000000002F60: BECE00FF BD92220C
	s_mov_b32 s79, 0xbd92220c                                  // 000000002F68: BECF00FF BD92220C
	s_mov_b32 m0, s48                                          // 000000002F70: BEFC0030
	v_mov_b32_e32 v1, 0xbfcc4231                               // 000000002F74: 7E0202FF BFCC4231
	v_mov_b32_e32 v17, 0xffff0000                              // 000000002F7C: 7E2202FF FFFF0000
	v_mov_b32_e32 v18, 0x7fff0000                              // 000000002F84: 7E2402FF 7FFF0000
	v_mov_b32_e32 v19, 0x7fff                                  // 000000002F8C: 7E2602FF 00007FFF
	s_waitcnt vmcnt(0) expcnt(0) lgkmcnt(0)                    // 000000002F94: BF8C0000
	v_lshrrev_b32_e32 v4, 5, v0                                // 000000002F98: 20080085
	v_xor_b32_e32 v5, 1, v4                                    // 000000002F9C: 2A0A0881
	v_readlane_b32 s82, v3, 0                                  // 000000002FA0: D2890052 00010103
	s_and_b32 s82, s82, 0xffffff                               // 000000002FA8: 8652FF52 00FFFFFF
	v_mul_lo_u32 v6, v5, s82                                   // 000000002FB0: D2850006 0000A505
	v_readlane_b32 s82, v3, 1                                  // 000000002FB8: D2890052 00010303
	s_and_b32 s82, s82, 0xffffff                               // 000000002FC0: 8652FF52 00FFFFFF
	v_mul_lo_u32 v7, v4, s82                                   // 000000002FC8: D2850007 0000A504
	v_add_u32_e32 v34, v6, v7                                  // 000000002FD0: 68440F06
	v_mul_lo_u32 v34, v34, s68                                 // 000000002FD4: D2850022 00008922
	v_readlane_b32 s82, v3, 2                                  // 000000002FDC: D2890052 00010503
	s_and_b32 s82, s82, 0xffffff                               // 000000002FE4: 8652FF52 00FFFFFF
	v_mul_lo_u32 v6, v5, s82                                   // 000000002FEC: D2850006 0000A505
	v_readlane_b32 s82, v3, 3                                  // 000000002FF4: D2890052 00010703
	s_and_b32 s82, s82, 0xffffff                               // 000000002FFC: 8652FF52 00FFFFFF
	v_mul_lo_u32 v7, v4, s82                                   // 000000003004: D2850007 0000A504
	v_add_u32_e32 v35, v6, v7                                  // 00000000300C: 68460F06
	v_mul_lo_u32 v35, v35, s68                                 // 000000003010: D2850023 00008923
	v_and_b32_e32 v4, 31, v0                                   // 000000003018: 2608009F
	v_lshlrev_b32_e32 v4, 2, v4                                // 00000000301C: 24080882
	v_add_u32_e32 v34, v34, v4                                 // 000000003020: 68440922
	v_add_u32_e32 v35, v35, v4                                 // 000000003024: 68460923
	v_and_b32_e32 v30, 0xffffff, v30                           // 000000003028: 263C3CFF 00FFFFFF
	v_lshlrev_b32_e32 v30, 2, v30                              // 000000003030: 243C3C82
	s_lshl_b32 s3, s66, 2                                      // 000000003034: 8E038242
	buffer_load_dword v34, s[20:23], 0 offen lds               // 000000003038: E0511000 80050022
	s_add_u32 m0, 0x100, s48                                   // 000000003040: 807C30FF 00000100
	buffer_load_dword v35, s[20:23], 0 offen lds               // 000000003048: E0511000 80050023
	s_add_u32 m0, 0, s49                                       // 000000003050: 807C3180
	s_add_u32 s20, s57, s20                                    // 000000003054: 80141439
	s_addc_u32 s21, 0, s21                                     // 000000003058: 82151580
	buffer_load_dword v31, v30, s[28:31], 0 offen              // 00000000305C: E0501000 80071F1E
	s_add_u32 s28, s3, s28                                     // 000000003064: 801C1C03
	s_addc_u32 s29, 0, s29                                     // 000000003068: 821D1D80
	buffer_load_dwordx4 a[16:19], v36, s[24:27], 0 offen       // 00000000306C: E05C1000 80861024
	buffer_load_dwordx4 a[20:23], v36, s[24:27], 0 offen offset:1024// 000000003074: E05C1400 80861424
	buffer_load_dwordx4 a[24:27], v37, s[24:27], 0 offen       // 00000000307C: E05C1000 80861825
	buffer_load_dwordx4 a[28:31], v37, s[24:27], 0 offen offset:1024// 000000003084: E05C1400 80861C25
	buffer_load_dwordx4 a[32:35], v38, s[24:27], 0 offen       // 00000000308C: E05C1000 80862026
	buffer_load_dwordx4 a[36:39], v38, s[24:27], 0 offen offset:1024// 000000003094: E05C1400 80862426
	buffer_load_dwordx4 a[40:43], v39, s[24:27], 0 offen       // 00000000309C: E05C1000 80862827
	buffer_load_dwordx4 a[44:47], v39, s[24:27], 0 offen offset:1024// 0000000030A4: E05C1400 80862C27
	buffer_load_dwordx4 a[48:51], v40, s[24:27], 0 offen       // 0000000030AC: E05C1000 80863028
	buffer_load_dwordx4 a[52:55], v40, s[24:27], 0 offen offset:1024// 0000000030B4: E05C1400 80863428
	buffer_load_dwordx4 a[56:59], v41, s[24:27], 0 offen       // 0000000030BC: E05C1000 80863829
	buffer_load_dwordx4 a[60:63], v41, s[24:27], 0 offen offset:1024// 0000000030C4: E05C1400 80863C29
	buffer_load_dwordx4 a[64:67], v42, s[24:27], 0 offen       // 0000000030CC: E05C1000 8086402A
	buffer_load_dwordx4 a[68:71], v42, s[24:27], 0 offen offset:1024// 0000000030D4: E05C1400 8086442A
	buffer_load_dwordx4 a[72:75], v43, s[24:27], 0 offen       // 0000000030DC: E05C1000 8086482B
	buffer_load_dwordx4 a[76:79], v43, s[24:27], 0 offen offset:1024// 0000000030E4: E05C1400 80864C2B
	s_add_u32 s24, s58, s24                                    // 0000000030EC: 8018183A
	s_addc_u32 s25, 0, s25                                     // 0000000030F0: 82191980
	buffer_load_dword v24, v22, s[32:35], 0 offen              // 0000000030F4: E0501000 80081816
	buffer_load_dword v34, s[20:23], 0 offen lds               // 0000000030FC: E0511000 80050022
	s_add_u32 m0, 0x100, s49                                   // 000000003104: 807C31FF 00000100
	buffer_load_dword v35, s[20:23], 0 offen lds               // 00000000310C: E0511000 80050023
	s_add_u32 m0, 0, s50                                       // 000000003114: 807C3280
	s_add_u32 s20, s57, s20                                    // 000000003118: 80141439
	s_addc_u32 s21, 0, s21                                     // 00000000311C: 82151580
	buffer_load_dword v32, v30, s[28:31], 0 offen              // 000000003120: E0501000 8007201E
	s_add_u32 s28, s3, s28                                     // 000000003128: 801C1C03
	s_addc_u32 s29, 0, s29                                     // 00000000312C: 821D1D80
	buffer_load_dwordx4 a[80:83], v36, s[84:87], 0 offen       // 000000003130: E05C1000 80955024
	buffer_load_dwordx4 a[84:87], v36, s[84:87], 0 offen offset:1024// 000000003138: E05C1400 80955424
	buffer_load_dwordx4 a[88:91], v37, s[84:87], 0 offen       // 000000003140: E05C1000 80955825
	buffer_load_dwordx4 a[92:95], v37, s[84:87], 0 offen offset:1024// 000000003148: E05C1400 80955C25
	buffer_load_dwordx4 a[96:99], v38, s[84:87], 0 offen       // 000000003150: E05C1000 80956026
	buffer_load_dwordx4 a[100:103], v38, s[84:87], 0 offen offset:1024// 000000003158: E05C1400 80956426
	buffer_load_dwordx4 a[104:107], v39, s[84:87], 0 offen     // 000000003160: E05C1000 80956827
	buffer_load_dwordx4 a[108:111], v39, s[84:87], 0 offen offset:1024// 000000003168: E05C1400 80956C27
	buffer_load_dwordx4 a[112:115], v40, s[84:87], 0 offen     // 000000003170: E05C1000 80957028
	buffer_load_dwordx4 a[116:119], v40, s[84:87], 0 offen offset:1024// 000000003178: E05C1400 80957428
	buffer_load_dwordx4 a[120:123], v41, s[84:87], 0 offen     // 000000003180: E05C1000 80957829
	buffer_load_dwordx4 a[124:127], v41, s[84:87], 0 offen offset:1024// 000000003188: E05C1400 80957C29
	buffer_load_dwordx4 a[128:131], v42, s[84:87], 0 offen     // 000000003190: E05C1000 8095802A
	buffer_load_dwordx4 a[132:135], v42, s[84:87], 0 offen offset:1024// 000000003198: E05C1400 8095842A
	buffer_load_dwordx4 a[136:139], v43, s[84:87], 0 offen     // 0000000031A0: E05C1000 8095882B
	buffer_load_dwordx4 a[140:143], v43, s[84:87], 0 offen offset:1024// 0000000031A8: E05C1400 80958C2B
	s_add_u32 s84, s83, s84                                    // 0000000031B0: 80545453
	s_addc_u32 s85, 0, s85                                     // 0000000031B4: 82555580
	buffer_load_dword v27, v23, s[32:35], 0 offen              // 0000000031B8: E0501000 80081B17
	s_add_u32 s32, s4, s32                                     // 0000000031C0: 80202004
	s_addc_u32 s33, 0, s33                                     // 0000000031C4: 82212180
	s_waitcnt vmcnt(38)                                        // 0000000031C8: BF8C8F76
	s_barrier                                                  // 0000000031CC: BF8A0000
	ds_read_b128 a[0:3], v2                                    // 0000000031D0: DBFE0000 00000002
	ds_read_b128 a[4:7], v2 offset:64                          // 0000000031D8: DBFE0040 04000002
	s_cmp_lt_i32 s7, 2                                         // 0000000031E0: BF048207
	s_cbranch_scc0 label_1187                                  // 0000000031E4: BF840F8A

00000000000031e8 <label_01FA>:
	s_waitcnt vmcnt(20) lgkmcnt(0)                             // 0000000031E8: BF8C4074
	v_mul_f32_dpp v4, v24, v31 row_newbcast:0 row_mask:0xf bank_mask:0xf// 0000000031EC: 0A083EFA FF015018
	v_mfma_f32_16x16x32_fp8_fp8 v[8:11], a[16:17], a[0:1], 0   // 0000000031F4: D3F30008 1A020110
	buffer_load_dword v25, v22, s[32:35], 0 offen              // 0000000031FC: E0501000 80081916
	v_mfma_f32_16x16x32_fp8_fp8 v[8:11], a[18:19], a[2:3], v[8:11]// 000000003204: D3F30008 1C220512
	buffer_load_dwordx4 a[144:147], v36, s[24:27], 0 offen     // 00000000320C: E05C1000 80869024
	v_mfma_f32_16x16x32_fp8_fp8 v[8:11], a[20:21], a[4:5], v[8:11]// 000000003214: D3F30008 1C220914
	v_mfma_f32_16x16x32_fp8_fp8 v[8:11], a[22:23], a[6:7], v[8:11]// 00000000321C: D3F30008 1C220D16
	v_mfma_f32_16x16x32_fp8_fp8 v[12:15], a[24:25], a[0:1], 0  // 000000003224: D3F3000C 1A020118
	v_mfma_f32_16x16x32_fp8_fp8 v[12:15], a[26:27], a[2:3], v[12:15]// 00000000322C: D3F3000C 1C32051A
	buffer_load_dwordx4 a[148:151], v36, s[24:27], 0 offen offset:1024// 000000003234: E05C1400 80869424
	v_mfma_f32_16x16x32_fp8_fp8 v[12:15], a[28:29], a[4:5], v[12:15]// 00000000323C: D3F3000C 1C32091C
	v_mfma_f32_16x16x32_fp8_fp8 v[12:15], a[30:31], a[6:7], v[12:15]// 000000003244: D3F3000C 1C320D1E
	v_fma_f32 v44, v8, v4, v44                                 // 00000000324C: D1CB002C 04B20908
	v_fma_f32 v45, v9, v4, v45                                 // 000000003254: D1CB002D 04B60909
	v_fma_f32 v46, v10, v4, v46                                // 00000000325C: D1CB002E 04BA090A
	v_fma_f32 v47, v11, v4, v47                                // 000000003264: D1CB002F 04BE090B
	v_mul_f32_dpp v6, v24, v31 row_newbcast:1 row_mask:0xf bank_mask:0xf// 00000000326C: 0A0C3EFA FF015118
	v_mfma_f32_16x16x32_fp8_fp8 v[8:11], a[32:33], a[0:1], 0   // 000000003274: D3F30008 1A020120
	v_mfma_f32_16x16x32_fp8_fp8 v[8:11], a[34:35], a[2:3], v[8:11]// 00000000327C: D3F30008 1C220522
	buffer_load_dwordx4 a[152:155], v37, s[24:27], 0 offen     // 000000003284: E05C1000 80869825
	v_mfma_f32_16x16x32_fp8_fp8 v[8:11], a[36:37], a[4:5], v[8:11]// 00000000328C: D3F30008 1C220924
	v_mfma_f32_16x16x32_fp8_fp8 v[8:11], a[38:39], a[6:7], v[8:11]// 000000003294: D3F30008 1C220D26
	v_fma_f32 v48, v12, v4, v48                                // 00000000329C: D1CB0030 04C2090C
	v_fma_f32 v49, v13, v4, v49                                // 0000000032A4: D1CB0031 04C6090D
	v_fma_f32 v50, v14, v4, v50                                // 0000000032AC: D1CB0032 04CA090E
	v_fma_f32 v51, v15, v4, v51                                // 0000000032B4: D1CB0033 04CE090F
	v_mfma_f32_16x16x32_fp8_fp8 v[12:15], a[40:41], a[0:1], 0  // 0000000032BC: D3F3000C 1A020128
	v_mfma_f32_16x16x32_fp8_fp8 v[12:15], a[42:43], a[2:3], v[12:15]// 0000000032C4: D3F3000C 1C32052A
	buffer_load_dwordx4 a[156:159], v37, s[24:27], 0 offen offset:1024// 0000000032CC: E05C1400 80869C25
	v_mfma_f32_16x16x32_fp8_fp8 v[12:15], a[44:45], a[4:5], v[12:15]// 0000000032D4: D3F3000C 1C32092C
	v_mfma_f32_16x16x32_fp8_fp8 v[12:15], a[46:47], a[6:7], v[12:15]// 0000000032DC: D3F3000C 1C320D2E
	v_fma_f32 v52, v8, v6, v52                                 // 0000000032E4: D1CB0034 04D20D08
	v_fma_f32 v53, v9, v6, v53                                 // 0000000032EC: D1CB0035 04D60D09
	v_fma_f32 v54, v10, v6, v54                                // 0000000032F4: D1CB0036 04DA0D0A
	v_fma_f32 v55, v11, v6, v55                                // 0000000032FC: D1CB0037 04DE0D0B
	v_mul_f32_dpp v4, v24, v31 row_newbcast:2 row_mask:0xf bank_mask:0xf// 000000003304: 0A083EFA FF015218
	v_mfma_f32_16x16x32_fp8_fp8 v[8:11], a[48:49], a[0:1], 0   // 00000000330C: D3F30008 1A020130
	v_mfma_f32_16x16x32_fp8_fp8 v[8:11], a[50:51], a[2:3], v[8:11]// 000000003314: D3F30008 1C220532
	buffer_load_dwordx4 a[160:163], v38, s[24:27], 0 offen     // 00000000331C: E05C1000 8086A026
	v_mfma_f32_16x16x32_fp8_fp8 v[8:11], a[52:53], a[4:5], v[8:11]// 000000003324: D3F30008 1C220934
	v_mfma_f32_16x16x32_fp8_fp8 v[8:11], a[54:55], a[6:7], v[8:11]// 00000000332C: D3F30008 1C220D36
	v_fma_f32 v56, v12, v6, v56                                // 000000003334: D1CB0038 04E20D0C
	v_fma_f32 v57, v13, v6, v57                                // 00000000333C: D1CB0039 04E60D0D
	v_fma_f32 v58, v14, v6, v58                                // 000000003344: D1CB003A 04EA0D0E
	v_fma_f32 v59, v15, v6, v59                                // 00000000334C: D1CB003B 04EE0D0F
	v_mfma_f32_16x16x32_fp8_fp8 v[12:15], a[56:57], a[0:1], 0  // 000000003354: D3F3000C 1A020138
	v_mfma_f32_16x16x32_fp8_fp8 v[12:15], a[58:59], a[2:3], v[12:15]// 00000000335C: D3F3000C 1C32053A
	buffer_load_dwordx4 a[164:167], v38, s[24:27], 0 offen offset:1024// 000000003364: E05C1400 8086A426
	v_mfma_f32_16x16x32_fp8_fp8 v[12:15], a[60:61], a[4:5], v[12:15]// 00000000336C: D3F3000C 1C32093C
	v_mfma_f32_16x16x32_fp8_fp8 v[12:15], a[62:63], a[6:7], v[12:15]// 000000003374: D3F3000C 1C320D3E
	v_fma_f32 v60, v8, v4, v60                                 // 00000000337C: D1CB003C 04F20908
	v_fma_f32 v61, v9, v4, v61                                 // 000000003384: D1CB003D 04F60909
	v_fma_f32 v62, v10, v4, v62                                // 00000000338C: D1CB003E 04FA090A
	v_fma_f32 v63, v11, v4, v63                                // 000000003394: D1CB003F 04FE090B
	v_mul_f32_dpp v6, v24, v31 row_newbcast:3 row_mask:0xf bank_mask:0xf// 00000000339C: 0A0C3EFA FF015318
	v_mfma_f32_16x16x32_fp8_fp8 v[8:11], a[64:65], a[0:1], 0   // 0000000033A4: D3F30008 1A020140
	v_mfma_f32_16x16x32_fp8_fp8 v[8:11], a[66:67], a[2:3], v[8:11]// 0000000033AC: D3F30008 1C220542
	buffer_load_dwordx4 a[168:171], v39, s[24:27], 0 offen     // 0000000033B4: E05C1000 8086A827
	v_mfma_f32_16x16x32_fp8_fp8 v[8:11], a[68:69], a[4:5], v[8:11]// 0000000033BC: D3F30008 1C220944
	v_mfma_f32_16x16x32_fp8_fp8 v[8:11], a[70:71], a[6:7], v[8:11]// 0000000033C4: D3F30008 1C220D46
	v_fma_f32 v64, v12, v4, v64                                // 0000000033CC: D1CB0040 0502090C
	v_fma_f32 v65, v13, v4, v65                                // 0000000033D4: D1CB0041 0506090D
	v_fma_f32 v66, v14, v4, v66                                // 0000000033DC: D1CB0042 050A090E
	v_fma_f32 v67, v15, v4, v67                                // 0000000033E4: D1CB0043 050E090F
	v_mfma_f32_16x16x32_fp8_fp8 v[12:15], a[72:73], a[0:1], 0  // 0000000033EC: D3F3000C 1A020148
	v_mfma_f32_16x16x32_fp8_fp8 v[12:15], a[74:75], a[2:3], v[12:15]// 0000000033F4: D3F3000C 1C32054A
	buffer_load_dwordx4 a[172:175], v39, s[24:27], 0 offen offset:1024// 0000000033FC: E05C1400 8086AC27
	v_mfma_f32_16x16x32_fp8_fp8 v[12:15], a[76:77], a[4:5], v[12:15]// 000000003404: D3F3000C 1C32094C
	v_mfma_f32_16x16x32_fp8_fp8 v[12:15], a[78:79], a[6:7], v[12:15]// 00000000340C: D3F3000C 1C320D4E
	v_fma_f32 v68, v8, v6, v68                                 // 000000003414: D1CB0044 05120D08
	v_fma_f32 v69, v9, v6, v69                                 // 00000000341C: D1CB0045 05160D09
	v_fma_f32 v70, v10, v6, v70                                // 000000003424: D1CB0046 051A0D0A
	v_fma_f32 v71, v11, v6, v71                                // 00000000342C: D1CB0047 051E0D0B
	v_fma_f32 v72, v12, v6, v72                                // 000000003434: D1CB0048 05220D0C
	v_fma_f32 v73, v13, v6, v73                                // 00000000343C: D1CB0049 05260D0D
	v_fma_f32 v74, v14, v6, v74                                // 000000003444: D1CB004A 052A0D0E
	v_fma_f32 v75, v15, v6, v75                                // 00000000344C: D1CB004B 052E0D0F
	buffer_load_dwordx4 a[176:179], v40, s[24:27], 0 offen     // 000000003454: E05C1000 8086B028
	buffer_load_dwordx4 a[180:183], v40, s[24:27], 0 offen offset:1024// 00000000345C: E05C1400 8086B428
	buffer_load_dwordx4 a[184:187], v41, s[24:27], 0 offen     // 000000003464: E05C1000 8086B829
	buffer_load_dwordx4 a[188:191], v41, s[24:27], 0 offen offset:1024// 00000000346C: E05C1400 8086BC29
	buffer_load_dwordx4 a[192:195], v42, s[24:27], 0 offen     // 000000003474: E05C1000 8086C02A
	buffer_load_dwordx4 a[196:199], v42, s[24:27], 0 offen offset:1024// 00000000347C: E05C1400 8086C42A
	buffer_load_dwordx4 a[200:203], v43, s[24:27], 0 offen     // 000000003484: E05C1000 8086C82B
	buffer_load_dwordx4 a[204:207], v43, s[24:27], 0 offen offset:1024// 00000000348C: E05C1400 8086CC2B
	buffer_load_dword v34, s[20:23], 0 offen lds               // 000000003494: E0511000 80050022
	s_add_u32 m0, 0x100, s50                                   // 00000000349C: 807C32FF 00000100
	buffer_load_dword v35, s[20:23], 0 offen lds               // 0000000034A4: E0511000 80050023
	s_add_u32 m0, 0, s48                                       // 0000000034AC: 807C3080
	buffer_load_dword v33, v30, s[28:31], 0 offen              // 0000000034B0: E0501000 8007211E
	s_waitcnt vmcnt(20)                                        // 0000000034B8: BF8C4F74
	s_barrier                                                  // 0000000034BC: BF8A0000
	v_mul_f32_dpp v4, v27, v31 row_newbcast:0 row_mask:0xf bank_mask:0xf// 0000000034C0: 0A083EFA FF01501B
	v_mfma_f32_16x16x32_fp8_fp8 v[8:11], a[80:81], a[0:1], 0   // 0000000034C8: D3F30008 1A020150
	buffer_load_dword v28, v23, s[32:35], 0 offen              // 0000000034D0: E0501000 80081C17
	v_mfma_f32_16x16x32_fp8_fp8 v[8:11], a[82:83], a[2:3], v[8:11]// 0000000034D8: D3F30008 1C220552
	buffer_load_dwordx4 a[16:19], v36, s[84:87], 0 offen       // 0000000034E0: E05C1000 80951024
	v_mfma_f32_16x16x32_fp8_fp8 v[8:11], a[84:85], a[4:5], v[8:11]// 0000000034E8: D3F30008 1C220954
	v_mfma_f32_16x16x32_fp8_fp8 v[8:11], a[86:87], a[6:7], v[8:11]// 0000000034F0: D3F30008 1C220D56
	ds_read_b128 a[8:11], v2 offset:2176                       // 0000000034F8: DBFE0880 08000002
	ds_read_b128 a[12:15], v2 offset:2240                      // 000000003500: DBFE08C0 0C000002
	v_mfma_f32_16x16x32_fp8_fp8 v[12:15], a[88:89], a[0:1], 0  // 000000003508: D3F3000C 1A020158
	v_mfma_f32_16x16x32_fp8_fp8 v[12:15], a[90:91], a[2:3], v[12:15]// 000000003510: D3F3000C 1C32055A
	buffer_load_dwordx4 a[20:23], v36, s[84:87], 0 offen offset:1024// 000000003518: E05C1400 80951424
	v_mfma_f32_16x16x32_fp8_fp8 v[12:15], a[92:93], a[4:5], v[12:15]// 000000003520: D3F3000C 1C32095C
	v_mfma_f32_16x16x32_fp8_fp8 v[12:15], a[94:95], a[6:7], v[12:15]// 000000003528: D3F3000C 1C320D5E
	v_fma_f32 v76, v8, v4, v76                                 // 000000003530: D1CB004C 05320908
	v_fma_f32 v77, v9, v4, v77                                 // 000000003538: D1CB004D 05360909
	v_fma_f32 v78, v10, v4, v78                                // 000000003540: D1CB004E 053A090A
	v_fma_f32 v79, v11, v4, v79                                // 000000003548: D1CB004F 053E090B
	v_mul_f32_dpp v6, v27, v31 row_newbcast:1 row_mask:0xf bank_mask:0xf// 000000003550: 0A0C3EFA FF01511B
	v_mfma_f32_16x16x32_fp8_fp8 v[8:11], a[96:97], a[0:1], 0   // 000000003558: D3F30008 1A020160
	v_mfma_f32_16x16x32_fp8_fp8 v[8:11], a[98:99], a[2:3], v[8:11]// 000000003560: D3F30008 1C220562
	buffer_load_dwordx4 a[24:27], v37, s[84:87], 0 offen       // 000000003568: E05C1000 80951825
	v_mfma_f32_16x16x32_fp8_fp8 v[8:11], a[100:101], a[4:5], v[8:11]// 000000003570: D3F30008 1C220964
	v_mfma_f32_16x16x32_fp8_fp8 v[8:11], a[102:103], a[6:7], v[8:11]// 000000003578: D3F30008 1C220D66
	v_fma_f32 v80, v12, v4, v80                                // 000000003580: D1CB0050 0542090C
	v_fma_f32 v81, v13, v4, v81                                // 000000003588: D1CB0051 0546090D
	v_fma_f32 v82, v14, v4, v82                                // 000000003590: D1CB0052 054A090E
	v_fma_f32 v83, v15, v4, v83                                // 000000003598: D1CB0053 054E090F
	v_mfma_f32_16x16x32_fp8_fp8 v[12:15], a[104:105], a[0:1], 0// 0000000035A0: D3F3000C 1A020168
	v_mfma_f32_16x16x32_fp8_fp8 v[12:15], a[106:107], a[2:3], v[12:15]// 0000000035A8: D3F3000C 1C32056A
	buffer_load_dwordx4 a[28:31], v37, s[84:87], 0 offen offset:1024// 0000000035B0: E05C1400 80951C25
	v_mfma_f32_16x16x32_fp8_fp8 v[12:15], a[108:109], a[4:5], v[12:15]// 0000000035B8: D3F3000C 1C32096C
	v_mfma_f32_16x16x32_fp8_fp8 v[12:15], a[110:111], a[6:7], v[12:15]// 0000000035C0: D3F3000C 1C320D6E
	v_fma_f32 v84, v8, v6, v84                                 // 0000000035C8: D1CB0054 05520D08
	v_fma_f32 v85, v9, v6, v85                                 // 0000000035D0: D1CB0055 05560D09
	v_fma_f32 v86, v10, v6, v86                                // 0000000035D8: D1CB0056 055A0D0A
	v_fma_f32 v87, v11, v6, v87                                // 0000000035E0: D1CB0057 055E0D0B
	v_mul_f32_dpp v4, v27, v31 row_newbcast:2 row_mask:0xf bank_mask:0xf// 0000000035E8: 0A083EFA FF01521B
	v_mfma_f32_16x16x32_fp8_fp8 v[8:11], a[112:113], a[0:1], 0 // 0000000035F0: D3F30008 1A020170
	v_mfma_f32_16x16x32_fp8_fp8 v[8:11], a[114:115], a[2:3], v[8:11]// 0000000035F8: D3F30008 1C220572
	buffer_load_dwordx4 a[32:35], v38, s[84:87], 0 offen       // 000000003600: E05C1000 80952026
	v_mfma_f32_16x16x32_fp8_fp8 v[8:11], a[116:117], a[4:5], v[8:11]// 000000003608: D3F30008 1C220974
	v_mfma_f32_16x16x32_fp8_fp8 v[8:11], a[118:119], a[6:7], v[8:11]// 000000003610: D3F30008 1C220D76
	v_fma_f32 v88, v12, v6, v88                                // 000000003618: D1CB0058 05620D0C
	v_fma_f32 v89, v13, v6, v89                                // 000000003620: D1CB0059 05660D0D
	v_fma_f32 v90, v14, v6, v90                                // 000000003628: D1CB005A 056A0D0E
	v_fma_f32 v91, v15, v6, v91                                // 000000003630: D1CB005B 056E0D0F
	v_mfma_f32_16x16x32_fp8_fp8 v[12:15], a[120:121], a[0:1], 0// 000000003638: D3F3000C 1A020178
	v_mfma_f32_16x16x32_fp8_fp8 v[12:15], a[122:123], a[2:3], v[12:15]// 000000003640: D3F3000C 1C32057A
	buffer_load_dwordx4 a[36:39], v38, s[84:87], 0 offen offset:1024// 000000003648: E05C1400 80952426
	v_mfma_f32_16x16x32_fp8_fp8 v[12:15], a[124:125], a[4:5], v[12:15]// 000000003650: D3F3000C 1C32097C
	v_mfma_f32_16x16x32_fp8_fp8 v[12:15], a[126:127], a[6:7], v[12:15]// 000000003658: D3F3000C 1C320D7E
	v_fma_f32 v92, v8, v4, v92                                 // 000000003660: D1CB005C 05720908
	v_fma_f32 v93, v9, v4, v93                                 // 000000003668: D1CB005D 05760909
	v_fma_f32 v94, v10, v4, v94                                // 000000003670: D1CB005E 057A090A
	v_fma_f32 v95, v11, v4, v95                                // 000000003678: D1CB005F 057E090B
	v_mul_f32_dpp v6, v27, v31 row_newbcast:3 row_mask:0xf bank_mask:0xf// 000000003680: 0A0C3EFA FF01531B
	v_mfma_f32_16x16x32_fp8_fp8 v[8:11], a[128:129], a[0:1], 0 // 000000003688: D3F30008 1A020180
	s_add_u32 s60, 0x180, s80                                  // 000000003690: 803C50FF 00000180
	s_cmp_lt_u32 s60, s81                                      // 000000003698: BF0A513C
	s_cselect_b32 s57, s57, 0                                  // 00000000369C: 85398039
	s_cselect_b32 s3, s3, 0                                    // 0000000036A0: 85038003
	v_mfma_f32_16x16x32_fp8_fp8 v[8:11], a[130:131], a[2:3], v[8:11]// 0000000036A4: D3F30008 1C220582
	buffer_load_dwordx4 a[40:43], v39, s[84:87], 0 offen       // 0000000036AC: E05C1000 80952827
	s_add_u32 s60, 0x100, s80                                  // 0000000036B4: 803C50FF 00000100
	s_cmp_lt_u32 s60, s81                                      // 0000000036BC: BF0A513C
	s_cselect_b32 s58, s58, 0                                  // 0000000036C0: 853A803A
	v_mfma_f32_16x16x32_fp8_fp8 v[8:11], a[132:133], a[4:5], v[8:11]// 0000000036C4: D3F30008 1C220984
	s_add_u32 s60, 0x100, s80                                  // 0000000036CC: 803C50FF 00000100
	s_cmp_lt_u32 s60, s81                                      // 0000000036D4: BF0A513C
	s_cselect_b32 s83, s83, 0                                  // 0000000036D8: 85538053
	s_cselect_b32 s4, s4, 0                                    // 0000000036DC: 85048004
	v_mfma_f32_16x16x32_fp8_fp8 v[8:11], a[134:135], a[6:7], v[8:11]// 0000000036E0: D3F30008 1C220D86
	s_add_u32 s24, s58, s24                                    // 0000000036E8: 8018183A
	s_addc_u32 s25, 0, s25                                     // 0000000036EC: 82191980
	v_fma_f32 v96, v12, v4, v96                                // 0000000036F0: D1CB0060 0582090C
	v_fma_f32 v97, v13, v4, v97                                // 0000000036F8: D1CB0061 0586090D
	v_fma_f32 v98, v14, v4, v98                                // 000000003700: D1CB0062 058A090E
	v_fma_f32 v99, v15, v4, v99                                // 000000003708: D1CB0063 058E090F
	v_mfma_f32_16x16x32_fp8_fp8 v[12:15], a[136:137], a[0:1], 0// 000000003710: D3F3000C 1A020188
	s_add_u32 s20, s57, s20                                    // 000000003718: 80141439
	s_addc_u32 s21, 0, s21                                     // 00000000371C: 82151580
	s_add_u32 s28, s3, s28                                     // 000000003720: 801C1C03
	s_addc_u32 s29, 0, s29                                     // 000000003724: 821D1D80
	v_mfma_f32_16x16x32_fp8_fp8 v[12:15], a[138:139], a[2:3], v[12:15]// 000000003728: D3F3000C 1C32058A
	buffer_load_dwordx4 a[44:47], v39, s[84:87], 0 offen offset:1024// 000000003730: E05C1400 80952C27
	v_mfma_f32_16x16x32_fp8_fp8 v[12:15], a[140:141], a[4:5], v[12:15]// 000000003738: D3F3000C 1C32098C
	s_add_u32 s32, s4, s32                                     // 000000003740: 80202004
	s_addc_u32 s33, 0, s33                                     // 000000003744: 82212180
	v_mfma_f32_16x16x32_fp8_fp8 v[12:15], a[142:143], a[6:7], v[12:15]// 000000003748: D3F3000C 1C320D8E
	v_fma_f32 v100, v8, v6, v100                               // 000000003750: D1CB0064 05920D08
	v_fma_f32 v101, v9, v6, v101                               // 000000003758: D1CB0065 05960D09
	v_fma_f32 v102, v10, v6, v102                              // 000000003760: D1CB0066 059A0D0A
	v_fma_f32 v103, v11, v6, v103                              // 000000003768: D1CB0067 059E0D0B
	v_fma_f32 v104, v12, v6, v104                              // 000000003770: D1CB0068 05A20D0C
	v_fma_f32 v105, v13, v6, v105                              // 000000003778: D1CB0069 05A60D0D
	v_fma_f32 v106, v14, v6, v106                              // 000000003780: D1CB006A 05AA0D0E
	v_fma_f32 v107, v15, v6, v107                              // 000000003788: D1CB006B 05AE0D0F
	buffer_load_dwordx4 a[48:51], v40, s[84:87], 0 offen       // 000000003790: E05C1000 80953028
	buffer_load_dwordx4 a[52:55], v40, s[84:87], 0 offen offset:1024// 000000003798: E05C1400 80953428
	buffer_load_dwordx4 a[56:59], v41, s[84:87], 0 offen       // 0000000037A0: E05C1000 80953829
	buffer_load_dwordx4 a[60:63], v41, s[84:87], 0 offen offset:1024// 0000000037A8: E05C1400 80953C29
	buffer_load_dwordx4 a[64:67], v42, s[84:87], 0 offen       // 0000000037B0: E05C1000 8095402A
	buffer_load_dwordx4 a[68:71], v42, s[84:87], 0 offen offset:1024// 0000000037B8: E05C1400 8095442A
	buffer_load_dwordx4 a[72:75], v43, s[84:87], 0 offen       // 0000000037C0: E05C1000 8095482B
	buffer_load_dwordx4 a[76:79], v43, s[84:87], 0 offen offset:1024// 0000000037C8: E05C1400 80954C2B
	s_add_u32 s84, s83, s84                                    // 0000000037D0: 80545453
	s_addc_u32 s85, 0, s85                                     // 0000000037D4: 82555580
	s_addk_i32 s80, 0x80                                       // 0000000037D8: B7500080
	s_cmp_lt_i32 s80, s81                                      // 0000000037DC: BF045150
	s_cbranch_scc0 label_0AF5                                  // 0000000037E0: BF84077C
	s_waitcnt vmcnt(20) lgkmcnt(0)                             // 0000000037E4: BF8C4074
	v_mul_f32_dpp v4, v25, v32 row_newbcast:0 row_mask:0xf bank_mask:0xf// 0000000037E8: 0A0840FA FF015019
	v_mfma_f32_16x16x32_fp8_fp8 v[8:11], a[144:145], a[8:9], 0 // 0000000037F0: D3F30008 1A021190
	buffer_load_dword v26, v22, s[32:35], 0 offen              // 0000000037F8: E0501000 80081A16
	v_mfma_f32_16x16x32_fp8_fp8 v[8:11], a[146:147], a[10:11], v[8:11]// 000000003800: D3F30008 1C221592
	buffer_load_dwordx4 a[80:83], v36, s[24:27], 0 offen       // 000000003808: E05C1000 80865024
	v_mfma_f32_16x16x32_fp8_fp8 v[8:11], a[148:149], a[12:13], v[8:11]// 000000003810: D3F30008 1C221994
	v_mfma_f32_16x16x32_fp8_fp8 v[8:11], a[150:151], a[14:15], v[8:11]// 000000003818: D3F30008 1C221D96
	v_mfma_f32_16x16x32_fp8_fp8 v[12:15], a[152:153], a[8:9], 0// 000000003820: D3F3000C 1A021198
	v_mfma_f32_16x16x32_fp8_fp8 v[12:15], a[154:155], a[10:11], v[12:15]// 000000003828: D3F3000C 1C32159A
	buffer_load_dwordx4 a[84:87], v36, s[24:27], 0 offen offset:1024// 000000003830: E05C1400 80865424
	v_mfma_f32_16x16x32_fp8_fp8 v[12:15], a[156:157], a[12:13], v[12:15]// 000000003838: D3F3000C 1C32199C
	v_mfma_f32_16x16x32_fp8_fp8 v[12:15], a[158:159], a[14:15], v[12:15]// 000000003840: D3F3000C 1C321D9E
	v_fma_f32 v44, v8, v4, v44                                 // 000000003848: D1CB002C 04B20908
	v_fma_f32 v45, v9, v4, v45                                 // 000000003850: D1CB002D 04B60909
	v_fma_f32 v46, v10, v4, v46                                // 000000003858: D1CB002E 04BA090A
	v_fma_f32 v47, v11, v4, v47                                // 000000003860: D1CB002F 04BE090B
	v_mul_f32_dpp v6, v25, v32 row_newbcast:1 row_mask:0xf bank_mask:0xf// 000000003868: 0A0C40FA FF015119
	v_mfma_f32_16x16x32_fp8_fp8 v[8:11], a[160:161], a[8:9], 0 // 000000003870: D3F30008 1A0211A0
	v_mfma_f32_16x16x32_fp8_fp8 v[8:11], a[162:163], a[10:11], v[8:11]// 000000003878: D3F30008 1C2215A2
	buffer_load_dwordx4 a[88:91], v37, s[24:27], 0 offen       // 000000003880: E05C1000 80865825
	v_mfma_f32_16x16x32_fp8_fp8 v[8:11], a[164:165], a[12:13], v[8:11]// 000000003888: D3F30008 1C2219A4
	v_mfma_f32_16x16x32_fp8_fp8 v[8:11], a[166:167], a[14:15], v[8:11]// 000000003890: D3F30008 1C221DA6
	v_fma_f32 v48, v12, v4, v48                                // 000000003898: D1CB0030 04C2090C
	v_fma_f32 v49, v13, v4, v49                                // 0000000038A0: D1CB0031 04C6090D
	v_fma_f32 v50, v14, v4, v50                                // 0000000038A8: D1CB0032 04CA090E
	v_fma_f32 v51, v15, v4, v51                                // 0000000038B0: D1CB0033 04CE090F
	v_mfma_f32_16x16x32_fp8_fp8 v[12:15], a[168:169], a[8:9], 0// 0000000038B8: D3F3000C 1A0211A8
	v_mfma_f32_16x16x32_fp8_fp8 v[12:15], a[170:171], a[10:11], v[12:15]// 0000000038C0: D3F3000C 1C3215AA
	buffer_load_dwordx4 a[92:95], v37, s[24:27], 0 offen offset:1024// 0000000038C8: E05C1400 80865C25
	v_mfma_f32_16x16x32_fp8_fp8 v[12:15], a[172:173], a[12:13], v[12:15]// 0000000038D0: D3F3000C 1C3219AC
	v_mfma_f32_16x16x32_fp8_fp8 v[12:15], a[174:175], a[14:15], v[12:15]// 0000000038D8: D3F3000C 1C321DAE
	v_fma_f32 v52, v8, v6, v52                                 // 0000000038E0: D1CB0034 04D20D08
	v_fma_f32 v53, v9, v6, v53                                 // 0000000038E8: D1CB0035 04D60D09
	v_fma_f32 v54, v10, v6, v54                                // 0000000038F0: D1CB0036 04DA0D0A
	v_fma_f32 v55, v11, v6, v55                                // 0000000038F8: D1CB0037 04DE0D0B
	v_mul_f32_dpp v4, v25, v32 row_newbcast:2 row_mask:0xf bank_mask:0xf// 000000003900: 0A0840FA FF015219
	v_mfma_f32_16x16x32_fp8_fp8 v[8:11], a[176:177], a[8:9], 0 // 000000003908: D3F30008 1A0211B0
	v_mfma_f32_16x16x32_fp8_fp8 v[8:11], a[178:179], a[10:11], v[8:11]// 000000003910: D3F30008 1C2215B2
	buffer_load_dwordx4 a[96:99], v38, s[24:27], 0 offen       // 000000003918: E05C1000 80866026
	v_mfma_f32_16x16x32_fp8_fp8 v[8:11], a[180:181], a[12:13], v[8:11]// 000000003920: D3F30008 1C2219B4
	v_mfma_f32_16x16x32_fp8_fp8 v[8:11], a[182:183], a[14:15], v[8:11]// 000000003928: D3F30008 1C221DB6
	v_fma_f32 v56, v12, v6, v56                                // 000000003930: D1CB0038 04E20D0C
	v_fma_f32 v57, v13, v6, v57                                // 000000003938: D1CB0039 04E60D0D
	v_fma_f32 v58, v14, v6, v58                                // 000000003940: D1CB003A 04EA0D0E
	v_fma_f32 v59, v15, v6, v59                                // 000000003948: D1CB003B 04EE0D0F
	v_mfma_f32_16x16x32_fp8_fp8 v[12:15], a[184:185], a[8:9], 0// 000000003950: D3F3000C 1A0211B8
	v_mfma_f32_16x16x32_fp8_fp8 v[12:15], a[186:187], a[10:11], v[12:15]// 000000003958: D3F3000C 1C3215BA
	buffer_load_dwordx4 a[100:103], v38, s[24:27], 0 offen offset:1024// 000000003960: E05C1400 80866426
	v_mfma_f32_16x16x32_fp8_fp8 v[12:15], a[188:189], a[12:13], v[12:15]// 000000003968: D3F3000C 1C3219BC
	v_mfma_f32_16x16x32_fp8_fp8 v[12:15], a[190:191], a[14:15], v[12:15]// 000000003970: D3F3000C 1C321DBE
	v_fma_f32 v60, v8, v4, v60                                 // 000000003978: D1CB003C 04F20908
	v_fma_f32 v61, v9, v4, v61                                 // 000000003980: D1CB003D 04F60909
	v_fma_f32 v62, v10, v4, v62                                // 000000003988: D1CB003E 04FA090A
	v_fma_f32 v63, v11, v4, v63                                // 000000003990: D1CB003F 04FE090B
	v_mul_f32_dpp v6, v25, v32 row_newbcast:3 row_mask:0xf bank_mask:0xf// 000000003998: 0A0C40FA FF015319
	v_mfma_f32_16x16x32_fp8_fp8 v[8:11], a[192:193], a[8:9], 0 // 0000000039A0: D3F30008 1A0211C0
	v_mfma_f32_16x16x32_fp8_fp8 v[8:11], a[194:195], a[10:11], v[8:11]// 0000000039A8: D3F30008 1C2215C2
	buffer_load_dwordx4 a[104:107], v39, s[24:27], 0 offen     // 0000000039B0: E05C1000 80866827
	v_mfma_f32_16x16x32_fp8_fp8 v[8:11], a[196:197], a[12:13], v[8:11]// 0000000039B8: D3F30008 1C2219C4
	v_mfma_f32_16x16x32_fp8_fp8 v[8:11], a[198:199], a[14:15], v[8:11]// 0000000039C0: D3F30008 1C221DC6
	v_fma_f32 v64, v12, v4, v64                                // 0000000039C8: D1CB0040 0502090C
	v_fma_f32 v65, v13, v4, v65                                // 0000000039D0: D1CB0041 0506090D
	v_fma_f32 v66, v14, v4, v66                                // 0000000039D8: D1CB0042 050A090E
	v_fma_f32 v67, v15, v4, v67                                // 0000000039E0: D1CB0043 050E090F
	v_mfma_f32_16x16x32_fp8_fp8 v[12:15], a[200:201], a[8:9], 0// 0000000039E8: D3F3000C 1A0211C8
	v_mfma_f32_16x16x32_fp8_fp8 v[12:15], a[202:203], a[10:11], v[12:15]// 0000000039F0: D3F3000C 1C3215CA
	buffer_load_dwordx4 a[108:111], v39, s[24:27], 0 offen offset:1024// 0000000039F8: E05C1400 80866C27
	v_mfma_f32_16x16x32_fp8_fp8 v[12:15], a[204:205], a[12:13], v[12:15]// 000000003A00: D3F3000C 1C3219CC
	v_mfma_f32_16x16x32_fp8_fp8 v[12:15], a[206:207], a[14:15], v[12:15]// 000000003A08: D3F3000C 1C321DCE
	v_fma_f32 v68, v8, v6, v68                                 // 000000003A10: D1CB0044 05120D08
	v_fma_f32 v69, v9, v6, v69                                 // 000000003A18: D1CB0045 05160D09
	v_fma_f32 v70, v10, v6, v70                                // 000000003A20: D1CB0046 051A0D0A
	v_fma_f32 v71, v11, v6, v71                                // 000000003A28: D1CB0047 051E0D0B
	v_fma_f32 v72, v12, v6, v72                                // 000000003A30: D1CB0048 05220D0C
	v_fma_f32 v73, v13, v6, v73                                // 000000003A38: D1CB0049 05260D0D
	v_fma_f32 v74, v14, v6, v74                                // 000000003A40: D1CB004A 052A0D0E
	v_fma_f32 v75, v15, v6, v75                                // 000000003A48: D1CB004B 052E0D0F
	buffer_load_dwordx4 a[112:115], v40, s[24:27], 0 offen     // 000000003A50: E05C1000 80867028
	buffer_load_dwordx4 a[116:119], v40, s[24:27], 0 offen offset:1024// 000000003A58: E05C1400 80867428
	buffer_load_dwordx4 a[120:123], v41, s[24:27], 0 offen     // 000000003A60: E05C1000 80867829
	buffer_load_dwordx4 a[124:127], v41, s[24:27], 0 offen offset:1024// 000000003A68: E05C1400 80867C29
	buffer_load_dwordx4 a[128:131], v42, s[24:27], 0 offen     // 000000003A70: E05C1000 8086802A
	buffer_load_dwordx4 a[132:135], v42, s[24:27], 0 offen offset:1024// 000000003A78: E05C1400 8086842A
	buffer_load_dwordx4 a[136:139], v43, s[24:27], 0 offen     // 000000003A80: E05C1000 8086882B
	buffer_load_dwordx4 a[140:143], v43, s[24:27], 0 offen offset:1024// 000000003A88: E05C1400 80868C2B
	buffer_load_dword v34, s[20:23], 0 offen lds               // 000000003A90: E0511000 80050022
	s_add_u32 m0, 0x100, s48                                   // 000000003A98: 807C30FF 00000100
	buffer_load_dword v35, s[20:23], 0 offen lds               // 000000003AA0: E0511000 80050023
	s_add_u32 m0, 0, s49                                       // 000000003AA8: 807C3180
	buffer_load_dword v31, v30, s[28:31], 0 offen              // 000000003AAC: E0501000 80071F1E
	s_waitcnt vmcnt(20)                                        // 000000003AB4: BF8C4F74
	s_barrier                                                  // 000000003AB8: BF8A0000
	v_mul_f32_dpp v4, v28, v32 row_newbcast:0 row_mask:0xf bank_mask:0xf// 000000003ABC: 0A0840FA FF01501C
	v_mfma_f32_16x16x32_fp8_fp8 v[8:11], a[16:17], a[8:9], 0   // 000000003AC4: D3F30008 1A021110
	buffer_load_dword v29, v23, s[32:35], 0 offen              // 000000003ACC: E0501000 80081D17
	v_mfma_f32_16x16x32_fp8_fp8 v[8:11], a[18:19], a[10:11], v[8:11]// 000000003AD4: D3F30008 1C221512
	buffer_load_dwordx4 a[144:147], v36, s[84:87], 0 offen     // 000000003ADC: E05C1000 80959024
	v_mfma_f32_16x16x32_fp8_fp8 v[8:11], a[20:21], a[12:13], v[8:11]// 000000003AE4: D3F30008 1C221914
	v_mfma_f32_16x16x32_fp8_fp8 v[8:11], a[22:23], a[14:15], v[8:11]// 000000003AEC: D3F30008 1C221D16
	ds_read_b128 a[0:3], v2 offset:4352                        // 000000003AF4: DBFE1100 00000002
	ds_read_b128 a[4:7], v2 offset:4416                        // 000000003AFC: DBFE1140 04000002
	v_mfma_f32_16x16x32_fp8_fp8 v[12:15], a[24:25], a[8:9], 0  // 000000003B04: D3F3000C 1A021118
	v_mfma_f32_16x16x32_fp8_fp8 v[12:15], a[26:27], a[10:11], v[12:15]// 000000003B0C: D3F3000C 1C32151A
	buffer_load_dwordx4 a[148:151], v36, s[84:87], 0 offen offset:1024// 000000003B14: E05C1400 80959424
	v_mfma_f32_16x16x32_fp8_fp8 v[12:15], a[28:29], a[12:13], v[12:15]// 000000003B1C: D3F3000C 1C32191C
	v_mfma_f32_16x16x32_fp8_fp8 v[12:15], a[30:31], a[14:15], v[12:15]// 000000003B24: D3F3000C 1C321D1E
	v_fma_f32 v76, v8, v4, v76                                 // 000000003B2C: D1CB004C 05320908
	v_fma_f32 v77, v9, v4, v77                                 // 000000003B34: D1CB004D 05360909
	v_fma_f32 v78, v10, v4, v78                                // 000000003B3C: D1CB004E 053A090A
	v_fma_f32 v79, v11, v4, v79                                // 000000003B44: D1CB004F 053E090B
	v_mul_f32_dpp v6, v28, v32 row_newbcast:1 row_mask:0xf bank_mask:0xf// 000000003B4C: 0A0C40FA FF01511C
	v_mfma_f32_16x16x32_fp8_fp8 v[8:11], a[32:33], a[8:9], 0   // 000000003B54: D3F30008 1A021120
	v_mfma_f32_16x16x32_fp8_fp8 v[8:11], a[34:35], a[10:11], v[8:11]// 000000003B5C: D3F30008 1C221522
	buffer_load_dwordx4 a[152:155], v37, s[84:87], 0 offen     // 000000003B64: E05C1000 80959825
	v_mfma_f32_16x16x32_fp8_fp8 v[8:11], a[36:37], a[12:13], v[8:11]// 000000003B6C: D3F30008 1C221924
	v_mfma_f32_16x16x32_fp8_fp8 v[8:11], a[38:39], a[14:15], v[8:11]// 000000003B74: D3F30008 1C221D26
	v_fma_f32 v80, v12, v4, v80                                // 000000003B7C: D1CB0050 0542090C
	v_fma_f32 v81, v13, v4, v81                                // 000000003B84: D1CB0051 0546090D
	v_fma_f32 v82, v14, v4, v82                                // 000000003B8C: D1CB0052 054A090E
	v_fma_f32 v83, v15, v4, v83                                // 000000003B94: D1CB0053 054E090F
	v_mfma_f32_16x16x32_fp8_fp8 v[12:15], a[40:41], a[8:9], 0  // 000000003B9C: D3F3000C 1A021128
	v_mfma_f32_16x16x32_fp8_fp8 v[12:15], a[42:43], a[10:11], v[12:15]// 000000003BA4: D3F3000C 1C32152A
	buffer_load_dwordx4 a[156:159], v37, s[84:87], 0 offen offset:1024// 000000003BAC: E05C1400 80959C25
	v_mfma_f32_16x16x32_fp8_fp8 v[12:15], a[44:45], a[12:13], v[12:15]// 000000003BB4: D3F3000C 1C32192C
	v_mfma_f32_16x16x32_fp8_fp8 v[12:15], a[46:47], a[14:15], v[12:15]// 000000003BBC: D3F3000C 1C321D2E
	v_fma_f32 v84, v8, v6, v84                                 // 000000003BC4: D1CB0054 05520D08
	v_fma_f32 v85, v9, v6, v85                                 // 000000003BCC: D1CB0055 05560D09
	v_fma_f32 v86, v10, v6, v86                                // 000000003BD4: D1CB0056 055A0D0A
	v_fma_f32 v87, v11, v6, v87                                // 000000003BDC: D1CB0057 055E0D0B
	v_mul_f32_dpp v4, v28, v32 row_newbcast:2 row_mask:0xf bank_mask:0xf// 000000003BE4: 0A0840FA FF01521C
	v_mfma_f32_16x16x32_fp8_fp8 v[8:11], a[48:49], a[8:9], 0   // 000000003BEC: D3F30008 1A021130
	v_mfma_f32_16x16x32_fp8_fp8 v[8:11], a[50:51], a[10:11], v[8:11]// 000000003BF4: D3F30008 1C221532
	buffer_load_dwordx4 a[160:163], v38, s[84:87], 0 offen     // 000000003BFC: E05C1000 8095A026
	v_mfma_f32_16x16x32_fp8_fp8 v[8:11], a[52:53], a[12:13], v[8:11]// 000000003C04: D3F30008 1C221934
	v_mfma_f32_16x16x32_fp8_fp8 v[8:11], a[54:55], a[14:15], v[8:11]// 000000003C0C: D3F30008 1C221D36
	v_fma_f32 v88, v12, v6, v88                                // 000000003C14: D1CB0058 05620D0C
	v_fma_f32 v89, v13, v6, v89                                // 000000003C1C: D1CB0059 05660D0D
	v_fma_f32 v90, v14, v6, v90                                // 000000003C24: D1CB005A 056A0D0E
	v_fma_f32 v91, v15, v6, v91                                // 000000003C2C: D1CB005B 056E0D0F
	v_mfma_f32_16x16x32_fp8_fp8 v[12:15], a[56:57], a[8:9], 0  // 000000003C34: D3F3000C 1A021138
	v_mfma_f32_16x16x32_fp8_fp8 v[12:15], a[58:59], a[10:11], v[12:15]// 000000003C3C: D3F3000C 1C32153A
	buffer_load_dwordx4 a[164:167], v38, s[84:87], 0 offen offset:1024// 000000003C44: E05C1400 8095A426
	v_mfma_f32_16x16x32_fp8_fp8 v[12:15], a[60:61], a[12:13], v[12:15]// 000000003C4C: D3F3000C 1C32193C
	v_mfma_f32_16x16x32_fp8_fp8 v[12:15], a[62:63], a[14:15], v[12:15]// 000000003C54: D3F3000C 1C321D3E
	v_fma_f32 v92, v8, v4, v92                                 // 000000003C5C: D1CB005C 05720908
	v_fma_f32 v93, v9, v4, v93                                 // 000000003C64: D1CB005D 05760909
	v_fma_f32 v94, v10, v4, v94                                // 000000003C6C: D1CB005E 057A090A
	v_fma_f32 v95, v11, v4, v95                                // 000000003C74: D1CB005F 057E090B
	v_mul_f32_dpp v6, v28, v32 row_newbcast:3 row_mask:0xf bank_mask:0xf// 000000003C7C: 0A0C40FA FF01531C
	v_mfma_f32_16x16x32_fp8_fp8 v[8:11], a[64:65], a[8:9], 0   // 000000003C84: D3F30008 1A021140
	s_add_u32 s60, 0x180, s80                                  // 000000003C8C: 803C50FF 00000180
	s_cmp_lt_u32 s60, s81                                      // 000000003C94: BF0A513C
	s_cselect_b32 s57, s57, 0                                  // 000000003C98: 85398039
	s_cselect_b32 s3, s3, 0                                    // 000000003C9C: 85038003
	v_mfma_f32_16x16x32_fp8_fp8 v[8:11], a[66:67], a[10:11], v[8:11]// 000000003CA0: D3F30008 1C221542
	buffer_load_dwordx4 a[168:171], v39, s[84:87], 0 offen     // 000000003CA8: E05C1000 8095A827
	s_add_u32 s60, 0x100, s80                                  // 000000003CB0: 803C50FF 00000100
	s_cmp_lt_u32 s60, s81                                      // 000000003CB8: BF0A513C
	s_cselect_b32 s58, s58, 0                                  // 000000003CBC: 853A803A
	v_mfma_f32_16x16x32_fp8_fp8 v[8:11], a[68:69], a[12:13], v[8:11]// 000000003CC0: D3F30008 1C221944
	s_add_u32 s60, 0x100, s80                                  // 000000003CC8: 803C50FF 00000100
	s_cmp_lt_u32 s60, s81                                      // 000000003CD0: BF0A513C
	s_cselect_b32 s83, s83, 0                                  // 000000003CD4: 85538053
	s_cselect_b32 s4, s4, 0                                    // 000000003CD8: 85048004
	v_mfma_f32_16x16x32_fp8_fp8 v[8:11], a[70:71], a[14:15], v[8:11]// 000000003CDC: D3F30008 1C221D46
	s_add_u32 s24, s58, s24                                    // 000000003CE4: 8018183A
	s_addc_u32 s25, 0, s25                                     // 000000003CE8: 82191980
	v_fma_f32 v96, v12, v4, v96                                // 000000003CEC: D1CB0060 0582090C
	v_fma_f32 v97, v13, v4, v97                                // 000000003CF4: D1CB0061 0586090D
	v_fma_f32 v98, v14, v4, v98                                // 000000003CFC: D1CB0062 058A090E
	v_fma_f32 v99, v15, v4, v99                                // 000000003D04: D1CB0063 058E090F
	v_mfma_f32_16x16x32_fp8_fp8 v[12:15], a[72:73], a[8:9], 0  // 000000003D0C: D3F3000C 1A021148
	s_add_u32 s20, s57, s20                                    // 000000003D14: 80141439
	s_addc_u32 s21, 0, s21                                     // 000000003D18: 82151580
	s_add_u32 s28, s3, s28                                     // 000000003D1C: 801C1C03
	s_addc_u32 s29, 0, s29                                     // 000000003D20: 821D1D80
	v_mfma_f32_16x16x32_fp8_fp8 v[12:15], a[74:75], a[10:11], v[12:15]// 000000003D24: D3F3000C 1C32154A
	buffer_load_dwordx4 a[172:175], v39, s[84:87], 0 offen offset:1024// 000000003D2C: E05C1400 8095AC27
	v_mfma_f32_16x16x32_fp8_fp8 v[12:15], a[76:77], a[12:13], v[12:15]// 000000003D34: D3F3000C 1C32194C
	s_add_u32 s32, s4, s32                                     // 000000003D3C: 80202004
	s_addc_u32 s33, 0, s33                                     // 000000003D40: 82212180
	v_mfma_f32_16x16x32_fp8_fp8 v[12:15], a[78:79], a[14:15], v[12:15]// 000000003D44: D3F3000C 1C321D4E
	v_fma_f32 v100, v8, v6, v100                               // 000000003D4C: D1CB0064 05920D08
	v_fma_f32 v101, v9, v6, v101                               // 000000003D54: D1CB0065 05960D09
	v_fma_f32 v102, v10, v6, v102                              // 000000003D5C: D1CB0066 059A0D0A
	v_fma_f32 v103, v11, v6, v103                              // 000000003D64: D1CB0067 059E0D0B
	v_fma_f32 v104, v12, v6, v104                              // 000000003D6C: D1CB0068 05A20D0C
	v_fma_f32 v105, v13, v6, v105                              // 000000003D74: D1CB0069 05A60D0D
	v_fma_f32 v106, v14, v6, v106                              // 000000003D7C: D1CB006A 05AA0D0E
	v_fma_f32 v107, v15, v6, v107                              // 000000003D84: D1CB006B 05AE0D0F
	buffer_load_dwordx4 a[176:179], v40, s[84:87], 0 offen     // 000000003D8C: E05C1000 8095B028
	buffer_load_dwordx4 a[180:183], v40, s[84:87], 0 offen offset:1024// 000000003D94: E05C1400 8095B428
	buffer_load_dwordx4 a[184:187], v41, s[84:87], 0 offen     // 000000003D9C: E05C1000 8095B829
	buffer_load_dwordx4 a[188:191], v41, s[84:87], 0 offen offset:1024// 000000003DA4: E05C1400 8095BC29
	buffer_load_dwordx4 a[192:195], v42, s[84:87], 0 offen     // 000000003DAC: E05C1000 8095C02A
	buffer_load_dwordx4 a[196:199], v42, s[84:87], 0 offen offset:1024// 000000003DB4: E05C1400 8095C42A
	buffer_load_dwordx4 a[200:203], v43, s[84:87], 0 offen     // 000000003DBC: E05C1000 8095C82B
	buffer_load_dwordx4 a[204:207], v43, s[84:87], 0 offen offset:1024// 000000003DC4: E05C1400 8095CC2B
	s_add_u32 s84, s83, s84                                    // 000000003DCC: 80545453
	s_addc_u32 s85, 0, s85                                     // 000000003DD0: 82555580
	s_addk_i32 s80, 0x80                                       // 000000003DD4: B7500080
	s_cmp_lt_i32 s80, s81                                      // 000000003DD8: BF045150
	s_cbranch_scc0 label_0AF5                                  // 000000003DDC: BF8405FD
	s_waitcnt vmcnt(20) lgkmcnt(0)                             // 000000003DE0: BF8C4074
	v_mul_f32_dpp v4, v26, v33 row_newbcast:0 row_mask:0xf bank_mask:0xf// 000000003DE4: 0A0842FA FF01501A
	v_mfma_f32_16x16x32_fp8_fp8 v[8:11], a[80:81], a[0:1], 0   // 000000003DEC: D3F30008 1A020150
	buffer_load_dword v24, v22, s[32:35], 0 offen              // 000000003DF4: E0501000 80081816
	v_mfma_f32_16x16x32_fp8_fp8 v[8:11], a[82:83], a[2:3], v[8:11]// 000000003DFC: D3F30008 1C220552
	buffer_load_dwordx4 a[16:19], v36, s[24:27], 0 offen       // 000000003E04: E05C1000 80861024
	v_mfma_f32_16x16x32_fp8_fp8 v[8:11], a[84:85], a[4:5], v[8:11]// 000000003E0C: D3F30008 1C220954
	v_mfma_f32_16x16x32_fp8_fp8 v[8:11], a[86:87], a[6:7], v[8:11]// 000000003E14: D3F30008 1C220D56
	v_mfma_f32_16x16x32_fp8_fp8 v[12:15], a[88:89], a[0:1], 0  // 000000003E1C: D3F3000C 1A020158
	v_mfma_f32_16x16x32_fp8_fp8 v[12:15], a[90:91], a[2:3], v[12:15]// 000000003E24: D3F3000C 1C32055A
	buffer_load_dwordx4 a[20:23], v36, s[24:27], 0 offen offset:1024// 000000003E2C: E05C1400 80861424
	v_mfma_f32_16x16x32_fp8_fp8 v[12:15], a[92:93], a[4:5], v[12:15]// 000000003E34: D3F3000C 1C32095C
	v_mfma_f32_16x16x32_fp8_fp8 v[12:15], a[94:95], a[6:7], v[12:15]// 000000003E3C: D3F3000C 1C320D5E
	v_fma_f32 v44, v8, v4, v44                                 // 000000003E44: D1CB002C 04B20908
	v_fma_f32 v45, v9, v4, v45                                 // 000000003E4C: D1CB002D 04B60909
	v_fma_f32 v46, v10, v4, v46                                // 000000003E54: D1CB002E 04BA090A
	v_fma_f32 v47, v11, v4, v47                                // 000000003E5C: D1CB002F 04BE090B
	v_mul_f32_dpp v6, v26, v33 row_newbcast:1 row_mask:0xf bank_mask:0xf// 000000003E64: 0A0C42FA FF01511A
	v_mfma_f32_16x16x32_fp8_fp8 v[8:11], a[96:97], a[0:1], 0   // 000000003E6C: D3F30008 1A020160
	v_mfma_f32_16x16x32_fp8_fp8 v[8:11], a[98:99], a[2:3], v[8:11]// 000000003E74: D3F30008 1C220562
	buffer_load_dwordx4 a[24:27], v37, s[24:27], 0 offen       // 000000003E7C: E05C1000 80861825
	v_mfma_f32_16x16x32_fp8_fp8 v[8:11], a[100:101], a[4:5], v[8:11]// 000000003E84: D3F30008 1C220964
	v_mfma_f32_16x16x32_fp8_fp8 v[8:11], a[102:103], a[6:7], v[8:11]// 000000003E8C: D3F30008 1C220D66
	v_fma_f32 v48, v12, v4, v48                                // 000000003E94: D1CB0030 04C2090C
	v_fma_f32 v49, v13, v4, v49                                // 000000003E9C: D1CB0031 04C6090D
	v_fma_f32 v50, v14, v4, v50                                // 000000003EA4: D1CB0032 04CA090E
	v_fma_f32 v51, v15, v4, v51                                // 000000003EAC: D1CB0033 04CE090F
	v_mfma_f32_16x16x32_fp8_fp8 v[12:15], a[104:105], a[0:1], 0// 000000003EB4: D3F3000C 1A020168
	v_mfma_f32_16x16x32_fp8_fp8 v[12:15], a[106:107], a[2:3], v[12:15]// 000000003EBC: D3F3000C 1C32056A
	buffer_load_dwordx4 a[28:31], v37, s[24:27], 0 offen offset:1024// 000000003EC4: E05C1400 80861C25
	v_mfma_f32_16x16x32_fp8_fp8 v[12:15], a[108:109], a[4:5], v[12:15]// 000000003ECC: D3F3000C 1C32096C
	v_mfma_f32_16x16x32_fp8_fp8 v[12:15], a[110:111], a[6:7], v[12:15]// 000000003ED4: D3F3000C 1C320D6E
	v_fma_f32 v52, v8, v6, v52                                 // 000000003EDC: D1CB0034 04D20D08
	v_fma_f32 v53, v9, v6, v53                                 // 000000003EE4: D1CB0035 04D60D09
	v_fma_f32 v54, v10, v6, v54                                // 000000003EEC: D1CB0036 04DA0D0A
	v_fma_f32 v55, v11, v6, v55                                // 000000003EF4: D1CB0037 04DE0D0B
	v_mul_f32_dpp v4, v26, v33 row_newbcast:2 row_mask:0xf bank_mask:0xf// 000000003EFC: 0A0842FA FF01521A
	v_mfma_f32_16x16x32_fp8_fp8 v[8:11], a[112:113], a[0:1], 0 // 000000003F04: D3F30008 1A020170
	v_mfma_f32_16x16x32_fp8_fp8 v[8:11], a[114:115], a[2:3], v[8:11]// 000000003F0C: D3F30008 1C220572
	buffer_load_dwordx4 a[32:35], v38, s[24:27], 0 offen       // 000000003F14: E05C1000 80862026
	v_mfma_f32_16x16x32_fp8_fp8 v[8:11], a[116:117], a[4:5], v[8:11]// 000000003F1C: D3F30008 1C220974
	v_mfma_f32_16x16x32_fp8_fp8 v[8:11], a[118:119], a[6:7], v[8:11]// 000000003F24: D3F30008 1C220D76
	v_fma_f32 v56, v12, v6, v56                                // 000000003F2C: D1CB0038 04E20D0C
	v_fma_f32 v57, v13, v6, v57                                // 000000003F34: D1CB0039 04E60D0D
	v_fma_f32 v58, v14, v6, v58                                // 000000003F3C: D1CB003A 04EA0D0E
	v_fma_f32 v59, v15, v6, v59                                // 000000003F44: D1CB003B 04EE0D0F
	v_mfma_f32_16x16x32_fp8_fp8 v[12:15], a[120:121], a[0:1], 0// 000000003F4C: D3F3000C 1A020178
	v_mfma_f32_16x16x32_fp8_fp8 v[12:15], a[122:123], a[2:3], v[12:15]// 000000003F54: D3F3000C 1C32057A
	buffer_load_dwordx4 a[36:39], v38, s[24:27], 0 offen offset:1024// 000000003F5C: E05C1400 80862426
	v_mfma_f32_16x16x32_fp8_fp8 v[12:15], a[124:125], a[4:5], v[12:15]// 000000003F64: D3F3000C 1C32097C
	v_mfma_f32_16x16x32_fp8_fp8 v[12:15], a[126:127], a[6:7], v[12:15]// 000000003F6C: D3F3000C 1C320D7E
	v_fma_f32 v60, v8, v4, v60                                 // 000000003F74: D1CB003C 04F20908
	v_fma_f32 v61, v9, v4, v61                                 // 000000003F7C: D1CB003D 04F60909
	v_fma_f32 v62, v10, v4, v62                                // 000000003F84: D1CB003E 04FA090A
	v_fma_f32 v63, v11, v4, v63                                // 000000003F8C: D1CB003F 04FE090B
	v_mul_f32_dpp v6, v26, v33 row_newbcast:3 row_mask:0xf bank_mask:0xf// 000000003F94: 0A0C42FA FF01531A
	v_mfma_f32_16x16x32_fp8_fp8 v[8:11], a[128:129], a[0:1], 0 // 000000003F9C: D3F30008 1A020180
	v_mfma_f32_16x16x32_fp8_fp8 v[8:11], a[130:131], a[2:3], v[8:11]// 000000003FA4: D3F30008 1C220582
	buffer_load_dwordx4 a[40:43], v39, s[24:27], 0 offen       // 000000003FAC: E05C1000 80862827
	v_mfma_f32_16x16x32_fp8_fp8 v[8:11], a[132:133], a[4:5], v[8:11]// 000000003FB4: D3F30008 1C220984
	v_mfma_f32_16x16x32_fp8_fp8 v[8:11], a[134:135], a[6:7], v[8:11]// 000000003FBC: D3F30008 1C220D86
	v_fma_f32 v64, v12, v4, v64                                // 000000003FC4: D1CB0040 0502090C
	v_fma_f32 v65, v13, v4, v65                                // 000000003FCC: D1CB0041 0506090D
	v_fma_f32 v66, v14, v4, v66                                // 000000003FD4: D1CB0042 050A090E
	v_fma_f32 v67, v15, v4, v67                                // 000000003FDC: D1CB0043 050E090F
	v_mfma_f32_16x16x32_fp8_fp8 v[12:15], a[136:137], a[0:1], 0// 000000003FE4: D3F3000C 1A020188
	v_mfma_f32_16x16x32_fp8_fp8 v[12:15], a[138:139], a[2:3], v[12:15]// 000000003FEC: D3F3000C 1C32058A
	buffer_load_dwordx4 a[44:47], v39, s[24:27], 0 offen offset:1024// 000000003FF4: E05C1400 80862C27
	v_mfma_f32_16x16x32_fp8_fp8 v[12:15], a[140:141], a[4:5], v[12:15]// 000000003FFC: D3F3000C 1C32098C
	v_mfma_f32_16x16x32_fp8_fp8 v[12:15], a[142:143], a[6:7], v[12:15]// 000000004004: D3F3000C 1C320D8E
	v_fma_f32 v68, v8, v6, v68                                 // 00000000400C: D1CB0044 05120D08
	v_fma_f32 v69, v9, v6, v69                                 // 000000004014: D1CB0045 05160D09
	v_fma_f32 v70, v10, v6, v70                                // 00000000401C: D1CB0046 051A0D0A
	v_fma_f32 v71, v11, v6, v71                                // 000000004024: D1CB0047 051E0D0B
	v_fma_f32 v72, v12, v6, v72                                // 00000000402C: D1CB0048 05220D0C
	v_fma_f32 v73, v13, v6, v73                                // 000000004034: D1CB0049 05260D0D
	v_fma_f32 v74, v14, v6, v74                                // 00000000403C: D1CB004A 052A0D0E
	v_fma_f32 v75, v15, v6, v75                                // 000000004044: D1CB004B 052E0D0F
	buffer_load_dwordx4 a[48:51], v40, s[24:27], 0 offen       // 00000000404C: E05C1000 80863028
	buffer_load_dwordx4 a[52:55], v40, s[24:27], 0 offen offset:1024// 000000004054: E05C1400 80863428
	buffer_load_dwordx4 a[56:59], v41, s[24:27], 0 offen       // 00000000405C: E05C1000 80863829
	buffer_load_dwordx4 a[60:63], v41, s[24:27], 0 offen offset:1024// 000000004064: E05C1400 80863C29
	buffer_load_dwordx4 a[64:67], v42, s[24:27], 0 offen       // 00000000406C: E05C1000 8086402A
	buffer_load_dwordx4 a[68:71], v42, s[24:27], 0 offen offset:1024// 000000004074: E05C1400 8086442A
	buffer_load_dwordx4 a[72:75], v43, s[24:27], 0 offen       // 00000000407C: E05C1000 8086482B
	buffer_load_dwordx4 a[76:79], v43, s[24:27], 0 offen offset:1024// 000000004084: E05C1400 80864C2B
	buffer_load_dword v34, s[20:23], 0 offen lds               // 00000000408C: E0511000 80050022
	s_add_u32 m0, 0x100, s49                                   // 000000004094: 807C31FF 00000100
	buffer_load_dword v35, s[20:23], 0 offen lds               // 00000000409C: E0511000 80050023
	s_add_u32 m0, 0, s50                                       // 0000000040A4: 807C3280
	buffer_load_dword v32, v30, s[28:31], 0 offen              // 0000000040A8: E0501000 8007201E
	s_waitcnt vmcnt(20)                                        // 0000000040B0: BF8C4F74
	s_barrier                                                  // 0000000040B4: BF8A0000
	v_mul_f32_dpp v4, v29, v33 row_newbcast:0 row_mask:0xf bank_mask:0xf// 0000000040B8: 0A0842FA FF01501D
	v_mfma_f32_16x16x32_fp8_fp8 v[8:11], a[144:145], a[0:1], 0 // 0000000040C0: D3F30008 1A020190
	buffer_load_dword v27, v23, s[32:35], 0 offen              // 0000000040C8: E0501000 80081B17
	v_mfma_f32_16x16x32_fp8_fp8 v[8:11], a[146:147], a[2:3], v[8:11]// 0000000040D0: D3F30008 1C220592
	buffer_load_dwordx4 a[80:83], v36, s[84:87], 0 offen       // 0000000040D8: E05C1000 80955024
	v_mfma_f32_16x16x32_fp8_fp8 v[8:11], a[148:149], a[4:5], v[8:11]// 0000000040E0: D3F30008 1C220994
	v_mfma_f32_16x16x32_fp8_fp8 v[8:11], a[150:151], a[6:7], v[8:11]// 0000000040E8: D3F30008 1C220D96
	ds_read_b128 a[8:11], v2                                   // 0000000040F0: DBFE0000 08000002
	ds_read_b128 a[12:15], v2 offset:64                        // 0000000040F8: DBFE0040 0C000002
	v_mfma_f32_16x16x32_fp8_fp8 v[12:15], a[152:153], a[0:1], 0// 000000004100: D3F3000C 1A020198
	v_mfma_f32_16x16x32_fp8_fp8 v[12:15], a[154:155], a[2:3], v[12:15]// 000000004108: D3F3000C 1C32059A
	buffer_load_dwordx4 a[84:87], v36, s[84:87], 0 offen offset:1024// 000000004110: E05C1400 80955424
	v_mfma_f32_16x16x32_fp8_fp8 v[12:15], a[156:157], a[4:5], v[12:15]// 000000004118: D3F3000C 1C32099C
	v_mfma_f32_16x16x32_fp8_fp8 v[12:15], a[158:159], a[6:7], v[12:15]// 000000004120: D3F3000C 1C320D9E
	v_fma_f32 v76, v8, v4, v76                                 // 000000004128: D1CB004C 05320908
	v_fma_f32 v77, v9, v4, v77                                 // 000000004130: D1CB004D 05360909
	v_fma_f32 v78, v10, v4, v78                                // 000000004138: D1CB004E 053A090A
	v_fma_f32 v79, v11, v4, v79                                // 000000004140: D1CB004F 053E090B
	v_mul_f32_dpp v6, v29, v33 row_newbcast:1 row_mask:0xf bank_mask:0xf// 000000004148: 0A0C42FA FF01511D
	v_mfma_f32_16x16x32_fp8_fp8 v[8:11], a[160:161], a[0:1], 0 // 000000004150: D3F30008 1A0201A0
	v_mfma_f32_16x16x32_fp8_fp8 v[8:11], a[162:163], a[2:3], v[8:11]// 000000004158: D3F30008 1C2205A2
	buffer_load_dwordx4 a[88:91], v37, s[84:87], 0 offen       // 000000004160: E05C1000 80955825
	v_mfma_f32_16x16x32_fp8_fp8 v[8:11], a[164:165], a[4:5], v[8:11]// 000000004168: D3F30008 1C2209A4
	v_mfma_f32_16x16x32_fp8_fp8 v[8:11], a[166:167], a[6:7], v[8:11]// 000000004170: D3F30008 1C220DA6
	v_fma_f32 v80, v12, v4, v80                                // 000000004178: D1CB0050 0542090C
	v_fma_f32 v81, v13, v4, v81                                // 000000004180: D1CB0051 0546090D
	v_fma_f32 v82, v14, v4, v82                                // 000000004188: D1CB0052 054A090E
	v_fma_f32 v83, v15, v4, v83                                // 000000004190: D1CB0053 054E090F
	v_mfma_f32_16x16x32_fp8_fp8 v[12:15], a[168:169], a[0:1], 0// 000000004198: D3F3000C 1A0201A8
	v_mfma_f32_16x16x32_fp8_fp8 v[12:15], a[170:171], a[2:3], v[12:15]// 0000000041A0: D3F3000C 1C3205AA
	buffer_load_dwordx4 a[92:95], v37, s[84:87], 0 offen offset:1024// 0000000041A8: E05C1400 80955C25
	v_mfma_f32_16x16x32_fp8_fp8 v[12:15], a[172:173], a[4:5], v[12:15]// 0000000041B0: D3F3000C 1C3209AC
	v_mfma_f32_16x16x32_fp8_fp8 v[12:15], a[174:175], a[6:7], v[12:15]// 0000000041B8: D3F3000C 1C320DAE
	v_fma_f32 v84, v8, v6, v84                                 // 0000000041C0: D1CB0054 05520D08
	v_fma_f32 v85, v9, v6, v85                                 // 0000000041C8: D1CB0055 05560D09
	v_fma_f32 v86, v10, v6, v86                                // 0000000041D0: D1CB0056 055A0D0A
	v_fma_f32 v87, v11, v6, v87                                // 0000000041D8: D1CB0057 055E0D0B
	v_mul_f32_dpp v4, v29, v33 row_newbcast:2 row_mask:0xf bank_mask:0xf// 0000000041E0: 0A0842FA FF01521D
	v_mfma_f32_16x16x32_fp8_fp8 v[8:11], a[176:177], a[0:1], 0 // 0000000041E8: D3F30008 1A0201B0
	v_mfma_f32_16x16x32_fp8_fp8 v[8:11], a[178:179], a[2:3], v[8:11]// 0000000041F0: D3F30008 1C2205B2
	buffer_load_dwordx4 a[96:99], v38, s[84:87], 0 offen       // 0000000041F8: E05C1000 80956026
	v_mfma_f32_16x16x32_fp8_fp8 v[8:11], a[180:181], a[4:5], v[8:11]// 000000004200: D3F30008 1C2209B4
	v_mfma_f32_16x16x32_fp8_fp8 v[8:11], a[182:183], a[6:7], v[8:11]// 000000004208: D3F30008 1C220DB6
	v_fma_f32 v88, v12, v6, v88                                // 000000004210: D1CB0058 05620D0C
	v_fma_f32 v89, v13, v6, v89                                // 000000004218: D1CB0059 05660D0D
	v_fma_f32 v90, v14, v6, v90                                // 000000004220: D1CB005A 056A0D0E
	v_fma_f32 v91, v15, v6, v91                                // 000000004228: D1CB005B 056E0D0F
	v_mfma_f32_16x16x32_fp8_fp8 v[12:15], a[184:185], a[0:1], 0// 000000004230: D3F3000C 1A0201B8
	v_mfma_f32_16x16x32_fp8_fp8 v[12:15], a[186:187], a[2:3], v[12:15]// 000000004238: D3F3000C 1C3205BA
	buffer_load_dwordx4 a[100:103], v38, s[84:87], 0 offen offset:1024// 000000004240: E05C1400 80956426
	v_mfma_f32_16x16x32_fp8_fp8 v[12:15], a[188:189], a[4:5], v[12:15]// 000000004248: D3F3000C 1C3209BC
	v_mfma_f32_16x16x32_fp8_fp8 v[12:15], a[190:191], a[6:7], v[12:15]// 000000004250: D3F3000C 1C320DBE
	v_fma_f32 v92, v8, v4, v92                                 // 000000004258: D1CB005C 05720908
	v_fma_f32 v93, v9, v4, v93                                 // 000000004260: D1CB005D 05760909
	v_fma_f32 v94, v10, v4, v94                                // 000000004268: D1CB005E 057A090A
	v_fma_f32 v95, v11, v4, v95                                // 000000004270: D1CB005F 057E090B
	v_mul_f32_dpp v6, v29, v33 row_newbcast:3 row_mask:0xf bank_mask:0xf// 000000004278: 0A0C42FA FF01531D
	v_mfma_f32_16x16x32_fp8_fp8 v[8:11], a[192:193], a[0:1], 0 // 000000004280: D3F30008 1A0201C0
	s_add_u32 s60, 0x180, s80                                  // 000000004288: 803C50FF 00000180
	s_cmp_lt_u32 s60, s81                                      // 000000004290: BF0A513C
	s_cselect_b32 s57, s57, 0                                  // 000000004294: 85398039
	s_cselect_b32 s3, s3, 0                                    // 000000004298: 85038003
	v_mfma_f32_16x16x32_fp8_fp8 v[8:11], a[194:195], a[2:3], v[8:11]// 00000000429C: D3F30008 1C2205C2
	buffer_load_dwordx4 a[104:107], v39, s[84:87], 0 offen     // 0000000042A4: E05C1000 80956827
	s_add_u32 s60, 0x100, s80                                  // 0000000042AC: 803C50FF 00000100
	s_cmp_lt_u32 s60, s81                                      // 0000000042B4: BF0A513C
	s_cselect_b32 s58, s58, 0                                  // 0000000042B8: 853A803A
	v_mfma_f32_16x16x32_fp8_fp8 v[8:11], a[196:197], a[4:5], v[8:11]// 0000000042BC: D3F30008 1C2209C4
	s_add_u32 s60, 0x100, s80                                  // 0000000042C4: 803C50FF 00000100
	s_cmp_lt_u32 s60, s81                                      // 0000000042CC: BF0A513C
	s_cselect_b32 s83, s83, 0                                  // 0000000042D0: 85538053
	s_cselect_b32 s4, s4, 0                                    // 0000000042D4: 85048004
	v_mfma_f32_16x16x32_fp8_fp8 v[8:11], a[198:199], a[6:7], v[8:11]// 0000000042D8: D3F30008 1C220DC6
	s_add_u32 s24, s58, s24                                    // 0000000042E0: 8018183A
	s_addc_u32 s25, 0, s25                                     // 0000000042E4: 82191980
	v_fma_f32 v96, v12, v4, v96                                // 0000000042E8: D1CB0060 0582090C
	v_fma_f32 v97, v13, v4, v97                                // 0000000042F0: D1CB0061 0586090D
	v_fma_f32 v98, v14, v4, v98                                // 0000000042F8: D1CB0062 058A090E
	v_fma_f32 v99, v15, v4, v99                                // 000000004300: D1CB0063 058E090F
	v_mfma_f32_16x16x32_fp8_fp8 v[12:15], a[200:201], a[0:1], 0// 000000004308: D3F3000C 1A0201C8
	s_add_u32 s20, s57, s20                                    // 000000004310: 80141439
	s_addc_u32 s21, 0, s21                                     // 000000004314: 82151580
	s_add_u32 s28, s3, s28                                     // 000000004318: 801C1C03
	s_addc_u32 s29, 0, s29                                     // 00000000431C: 821D1D80
	v_mfma_f32_16x16x32_fp8_fp8 v[12:15], a[202:203], a[2:3], v[12:15]// 000000004320: D3F3000C 1C3205CA
	buffer_load_dwordx4 a[108:111], v39, s[84:87], 0 offen offset:1024// 000000004328: E05C1400 80956C27
	v_mfma_f32_16x16x32_fp8_fp8 v[12:15], a[204:205], a[4:5], v[12:15]// 000000004330: D3F3000C 1C3209CC
	s_add_u32 s32, s4, s32                                     // 000000004338: 80202004
	s_addc_u32 s33, 0, s33                                     // 00000000433C: 82212180
	v_mfma_f32_16x16x32_fp8_fp8 v[12:15], a[206:207], a[6:7], v[12:15]// 000000004340: D3F3000C 1C320DCE
	v_fma_f32 v100, v8, v6, v100                               // 000000004348: D1CB0064 05920D08
	v_fma_f32 v101, v9, v6, v101                               // 000000004350: D1CB0065 05960D09
	v_fma_f32 v102, v10, v6, v102                              // 000000004358: D1CB0066 059A0D0A
	v_fma_f32 v103, v11, v6, v103                              // 000000004360: D1CB0067 059E0D0B
	v_fma_f32 v104, v12, v6, v104                              // 000000004368: D1CB0068 05A20D0C
	v_fma_f32 v105, v13, v6, v105                              // 000000004370: D1CB0069 05A60D0D
	v_fma_f32 v106, v14, v6, v106                              // 000000004378: D1CB006A 05AA0D0E
	v_fma_f32 v107, v15, v6, v107                              // 000000004380: D1CB006B 05AE0D0F
	buffer_load_dwordx4 a[112:115], v40, s[84:87], 0 offen     // 000000004388: E05C1000 80957028
	buffer_load_dwordx4 a[116:119], v40, s[84:87], 0 offen offset:1024// 000000004390: E05C1400 80957428
	buffer_load_dwordx4 a[120:123], v41, s[84:87], 0 offen     // 000000004398: E05C1000 80957829
	buffer_load_dwordx4 a[124:127], v41, s[84:87], 0 offen offset:1024// 0000000043A0: E05C1400 80957C29
	buffer_load_dwordx4 a[128:131], v42, s[84:87], 0 offen     // 0000000043A8: E05C1000 8095802A
	buffer_load_dwordx4 a[132:135], v42, s[84:87], 0 offen offset:1024// 0000000043B0: E05C1400 8095842A
	buffer_load_dwordx4 a[136:139], v43, s[84:87], 0 offen     // 0000000043B8: E05C1000 8095882B
	buffer_load_dwordx4 a[140:143], v43, s[84:87], 0 offen offset:1024// 0000000043C0: E05C1400 80958C2B
	s_add_u32 s84, s83, s84                                    // 0000000043C8: 80545453
	s_addc_u32 s85, 0, s85                                     // 0000000043CC: 82555580
	s_addk_i32 s80, 0x80                                       // 0000000043D0: B7500080
	s_cmp_lt_i32 s80, s81                                      // 0000000043D4: BF045150
	s_cbranch_scc0 label_0AF5                                  // 0000000043D8: BF84047E
	s_waitcnt vmcnt(20) lgkmcnt(0)                             // 0000000043DC: BF8C4074
	v_mul_f32_dpp v4, v24, v31 row_newbcast:0 row_mask:0xf bank_mask:0xf// 0000000043E0: 0A083EFA FF015018
	v_mfma_f32_16x16x32_fp8_fp8 v[8:11], a[16:17], a[8:9], 0   // 0000000043E8: D3F30008 1A021110
	buffer_load_dword v25, v22, s[32:35], 0 offen              // 0000000043F0: E0501000 80081916
	v_mfma_f32_16x16x32_fp8_fp8 v[8:11], a[18:19], a[10:11], v[8:11]// 0000000043F8: D3F30008 1C221512
	buffer_load_dwordx4 a[144:147], v36, s[24:27], 0 offen     // 000000004400: E05C1000 80869024
	v_mfma_f32_16x16x32_fp8_fp8 v[8:11], a[20:21], a[12:13], v[8:11]// 000000004408: D3F30008 1C221914
	v_mfma_f32_16x16x32_fp8_fp8 v[8:11], a[22:23], a[14:15], v[8:11]// 000000004410: D3F30008 1C221D16
	v_mfma_f32_16x16x32_fp8_fp8 v[12:15], a[24:25], a[8:9], 0  // 000000004418: D3F3000C 1A021118
	v_mfma_f32_16x16x32_fp8_fp8 v[12:15], a[26:27], a[10:11], v[12:15]// 000000004420: D3F3000C 1C32151A
	buffer_load_dwordx4 a[148:151], v36, s[24:27], 0 offen offset:1024// 000000004428: E05C1400 80869424
	v_mfma_f32_16x16x32_fp8_fp8 v[12:15], a[28:29], a[12:13], v[12:15]// 000000004430: D3F3000C 1C32191C
	v_mfma_f32_16x16x32_fp8_fp8 v[12:15], a[30:31], a[14:15], v[12:15]// 000000004438: D3F3000C 1C321D1E
	v_fma_f32 v44, v8, v4, v44                                 // 000000004440: D1CB002C 04B20908
	v_fma_f32 v45, v9, v4, v45                                 // 000000004448: D1CB002D 04B60909
	v_fma_f32 v46, v10, v4, v46                                // 000000004450: D1CB002E 04BA090A
	v_fma_f32 v47, v11, v4, v47                                // 000000004458: D1CB002F 04BE090B
	v_mul_f32_dpp v6, v24, v31 row_newbcast:1 row_mask:0xf bank_mask:0xf// 000000004460: 0A0C3EFA FF015118
	v_mfma_f32_16x16x32_fp8_fp8 v[8:11], a[32:33], a[8:9], 0   // 000000004468: D3F30008 1A021120
	v_mfma_f32_16x16x32_fp8_fp8 v[8:11], a[34:35], a[10:11], v[8:11]// 000000004470: D3F30008 1C221522
	buffer_load_dwordx4 a[152:155], v37, s[24:27], 0 offen     // 000000004478: E05C1000 80869825
	v_mfma_f32_16x16x32_fp8_fp8 v[8:11], a[36:37], a[12:13], v[8:11]// 000000004480: D3F30008 1C221924
	v_mfma_f32_16x16x32_fp8_fp8 v[8:11], a[38:39], a[14:15], v[8:11]// 000000004488: D3F30008 1C221D26
	v_fma_f32 v48, v12, v4, v48                                // 000000004490: D1CB0030 04C2090C
	v_fma_f32 v49, v13, v4, v49                                // 000000004498: D1CB0031 04C6090D
	v_fma_f32 v50, v14, v4, v50                                // 0000000044A0: D1CB0032 04CA090E
	v_fma_f32 v51, v15, v4, v51                                // 0000000044A8: D1CB0033 04CE090F
	v_mfma_f32_16x16x32_fp8_fp8 v[12:15], a[40:41], a[8:9], 0  // 0000000044B0: D3F3000C 1A021128
	v_mfma_f32_16x16x32_fp8_fp8 v[12:15], a[42:43], a[10:11], v[12:15]// 0000000044B8: D3F3000C 1C32152A
	buffer_load_dwordx4 a[156:159], v37, s[24:27], 0 offen offset:1024// 0000000044C0: E05C1400 80869C25
	v_mfma_f32_16x16x32_fp8_fp8 v[12:15], a[44:45], a[12:13], v[12:15]// 0000000044C8: D3F3000C 1C32192C
	v_mfma_f32_16x16x32_fp8_fp8 v[12:15], a[46:47], a[14:15], v[12:15]// 0000000044D0: D3F3000C 1C321D2E
	v_fma_f32 v52, v8, v6, v52                                 // 0000000044D8: D1CB0034 04D20D08
	v_fma_f32 v53, v9, v6, v53                                 // 0000000044E0: D1CB0035 04D60D09
	v_fma_f32 v54, v10, v6, v54                                // 0000000044E8: D1CB0036 04DA0D0A
	v_fma_f32 v55, v11, v6, v55                                // 0000000044F0: D1CB0037 04DE0D0B
	v_mul_f32_dpp v4, v24, v31 row_newbcast:2 row_mask:0xf bank_mask:0xf// 0000000044F8: 0A083EFA FF015218
	v_mfma_f32_16x16x32_fp8_fp8 v[8:11], a[48:49], a[8:9], 0   // 000000004500: D3F30008 1A021130
	v_mfma_f32_16x16x32_fp8_fp8 v[8:11], a[50:51], a[10:11], v[8:11]// 000000004508: D3F30008 1C221532
	buffer_load_dwordx4 a[160:163], v38, s[24:27], 0 offen     // 000000004510: E05C1000 8086A026
	v_mfma_f32_16x16x32_fp8_fp8 v[8:11], a[52:53], a[12:13], v[8:11]// 000000004518: D3F30008 1C221934
	v_mfma_f32_16x16x32_fp8_fp8 v[8:11], a[54:55], a[14:15], v[8:11]// 000000004520: D3F30008 1C221D36
	v_fma_f32 v56, v12, v6, v56                                // 000000004528: D1CB0038 04E20D0C
	v_fma_f32 v57, v13, v6, v57                                // 000000004530: D1CB0039 04E60D0D
	v_fma_f32 v58, v14, v6, v58                                // 000000004538: D1CB003A 04EA0D0E
	v_fma_f32 v59, v15, v6, v59                                // 000000004540: D1CB003B 04EE0D0F
	v_mfma_f32_16x16x32_fp8_fp8 v[12:15], a[56:57], a[8:9], 0  // 000000004548: D3F3000C 1A021138
	v_mfma_f32_16x16x32_fp8_fp8 v[12:15], a[58:59], a[10:11], v[12:15]// 000000004550: D3F3000C 1C32153A
	buffer_load_dwordx4 a[164:167], v38, s[24:27], 0 offen offset:1024// 000000004558: E05C1400 8086A426
	v_mfma_f32_16x16x32_fp8_fp8 v[12:15], a[60:61], a[12:13], v[12:15]// 000000004560: D3F3000C 1C32193C
	v_mfma_f32_16x16x32_fp8_fp8 v[12:15], a[62:63], a[14:15], v[12:15]// 000000004568: D3F3000C 1C321D3E
	v_fma_f32 v60, v8, v4, v60                                 // 000000004570: D1CB003C 04F20908
	v_fma_f32 v61, v9, v4, v61                                 // 000000004578: D1CB003D 04F60909
	v_fma_f32 v62, v10, v4, v62                                // 000000004580: D1CB003E 04FA090A
	v_fma_f32 v63, v11, v4, v63                                // 000000004588: D1CB003F 04FE090B
	v_mul_f32_dpp v6, v24, v31 row_newbcast:3 row_mask:0xf bank_mask:0xf// 000000004590: 0A0C3EFA FF015318
	v_mfma_f32_16x16x32_fp8_fp8 v[8:11], a[64:65], a[8:9], 0   // 000000004598: D3F30008 1A021140
	v_mfma_f32_16x16x32_fp8_fp8 v[8:11], a[66:67], a[10:11], v[8:11]// 0000000045A0: D3F30008 1C221542
	buffer_load_dwordx4 a[168:171], v39, s[24:27], 0 offen     // 0000000045A8: E05C1000 8086A827
	v_mfma_f32_16x16x32_fp8_fp8 v[8:11], a[68:69], a[12:13], v[8:11]// 0000000045B0: D3F30008 1C221944
	v_mfma_f32_16x16x32_fp8_fp8 v[8:11], a[70:71], a[14:15], v[8:11]// 0000000045B8: D3F30008 1C221D46
	v_fma_f32 v64, v12, v4, v64                                // 0000000045C0: D1CB0040 0502090C
	v_fma_f32 v65, v13, v4, v65                                // 0000000045C8: D1CB0041 0506090D
	v_fma_f32 v66, v14, v4, v66                                // 0000000045D0: D1CB0042 050A090E
	v_fma_f32 v67, v15, v4, v67                                // 0000000045D8: D1CB0043 050E090F
	v_mfma_f32_16x16x32_fp8_fp8 v[12:15], a[72:73], a[8:9], 0  // 0000000045E0: D3F3000C 1A021148
	v_mfma_f32_16x16x32_fp8_fp8 v[12:15], a[74:75], a[10:11], v[12:15]// 0000000045E8: D3F3000C 1C32154A
	buffer_load_dwordx4 a[172:175], v39, s[24:27], 0 offen offset:1024// 0000000045F0: E05C1400 8086AC27
	v_mfma_f32_16x16x32_fp8_fp8 v[12:15], a[76:77], a[12:13], v[12:15]// 0000000045F8: D3F3000C 1C32194C
	v_mfma_f32_16x16x32_fp8_fp8 v[12:15], a[78:79], a[14:15], v[12:15]// 000000004600: D3F3000C 1C321D4E
	v_fma_f32 v68, v8, v6, v68                                 // 000000004608: D1CB0044 05120D08
	v_fma_f32 v69, v9, v6, v69                                 // 000000004610: D1CB0045 05160D09
	v_fma_f32 v70, v10, v6, v70                                // 000000004618: D1CB0046 051A0D0A
	v_fma_f32 v71, v11, v6, v71                                // 000000004620: D1CB0047 051E0D0B
	v_fma_f32 v72, v12, v6, v72                                // 000000004628: D1CB0048 05220D0C
	v_fma_f32 v73, v13, v6, v73                                // 000000004630: D1CB0049 05260D0D
	v_fma_f32 v74, v14, v6, v74                                // 000000004638: D1CB004A 052A0D0E
	v_fma_f32 v75, v15, v6, v75                                // 000000004640: D1CB004B 052E0D0F
	buffer_load_dwordx4 a[176:179], v40, s[24:27], 0 offen     // 000000004648: E05C1000 8086B028
	buffer_load_dwordx4 a[180:183], v40, s[24:27], 0 offen offset:1024// 000000004650: E05C1400 8086B428
	buffer_load_dwordx4 a[184:187], v41, s[24:27], 0 offen     // 000000004658: E05C1000 8086B829
	buffer_load_dwordx4 a[188:191], v41, s[24:27], 0 offen offset:1024// 000000004660: E05C1400 8086BC29
	buffer_load_dwordx4 a[192:195], v42, s[24:27], 0 offen     // 000000004668: E05C1000 8086C02A
	buffer_load_dwordx4 a[196:199], v42, s[24:27], 0 offen offset:1024// 000000004670: E05C1400 8086C42A
	buffer_load_dwordx4 a[200:203], v43, s[24:27], 0 offen     // 000000004678: E05C1000 8086C82B
	buffer_load_dwordx4 a[204:207], v43, s[24:27], 0 offen offset:1024// 000000004680: E05C1400 8086CC2B
	buffer_load_dword v34, s[20:23], 0 offen lds               // 000000004688: E0511000 80050022
	s_add_u32 m0, 0x100, s50                                   // 000000004690: 807C32FF 00000100
	buffer_load_dword v35, s[20:23], 0 offen lds               // 000000004698: E0511000 80050023
	s_add_u32 m0, 0, s48                                       // 0000000046A0: 807C3080
	buffer_load_dword v33, v30, s[28:31], 0 offen              // 0000000046A4: E0501000 8007211E
	s_waitcnt vmcnt(20)                                        // 0000000046AC: BF8C4F74
	s_barrier                                                  // 0000000046B0: BF8A0000
	v_mul_f32_dpp v4, v27, v31 row_newbcast:0 row_mask:0xf bank_mask:0xf// 0000000046B4: 0A083EFA FF01501B
	v_mfma_f32_16x16x32_fp8_fp8 v[8:11], a[80:81], a[8:9], 0   // 0000000046BC: D3F30008 1A021150
	buffer_load_dword v28, v23, s[32:35], 0 offen              // 0000000046C4: E0501000 80081C17
	v_mfma_f32_16x16x32_fp8_fp8 v[8:11], a[82:83], a[10:11], v[8:11]// 0000000046CC: D3F30008 1C221552
	buffer_load_dwordx4 a[16:19], v36, s[84:87], 0 offen       // 0000000046D4: E05C1000 80951024
	v_mfma_f32_16x16x32_fp8_fp8 v[8:11], a[84:85], a[12:13], v[8:11]// 0000000046DC: D3F30008 1C221954
	v_mfma_f32_16x16x32_fp8_fp8 v[8:11], a[86:87], a[14:15], v[8:11]// 0000000046E4: D3F30008 1C221D56
	ds_read_b128 a[0:3], v2 offset:2176                        // 0000000046EC: DBFE0880 00000002
	ds_read_b128 a[4:7], v2 offset:2240                        // 0000000046F4: DBFE08C0 04000002
	v_mfma_f32_16x16x32_fp8_fp8 v[12:15], a[88:89], a[8:9], 0  // 0000000046FC: D3F3000C 1A021158
	v_mfma_f32_16x16x32_fp8_fp8 v[12:15], a[90:91], a[10:11], v[12:15]// 000000004704: D3F3000C 1C32155A
	buffer_load_dwordx4 a[20:23], v36, s[84:87], 0 offen offset:1024// 00000000470C: E05C1400 80951424
	v_mfma_f32_16x16x32_fp8_fp8 v[12:15], a[92:93], a[12:13], v[12:15]// 000000004714: D3F3000C 1C32195C
	v_mfma_f32_16x16x32_fp8_fp8 v[12:15], a[94:95], a[14:15], v[12:15]// 00000000471C: D3F3000C 1C321D5E
	v_fma_f32 v76, v8, v4, v76                                 // 000000004724: D1CB004C 05320908
	v_fma_f32 v77, v9, v4, v77                                 // 00000000472C: D1CB004D 05360909
	v_fma_f32 v78, v10, v4, v78                                // 000000004734: D1CB004E 053A090A
	v_fma_f32 v79, v11, v4, v79                                // 00000000473C: D1CB004F 053E090B
	v_mul_f32_dpp v6, v27, v31 row_newbcast:1 row_mask:0xf bank_mask:0xf// 000000004744: 0A0C3EFA FF01511B
	v_mfma_f32_16x16x32_fp8_fp8 v[8:11], a[96:97], a[8:9], 0   // 00000000474C: D3F30008 1A021160
	v_mfma_f32_16x16x32_fp8_fp8 v[8:11], a[98:99], a[10:11], v[8:11]// 000000004754: D3F30008 1C221562
	buffer_load_dwordx4 a[24:27], v37, s[84:87], 0 offen       // 00000000475C: E05C1000 80951825
	v_mfma_f32_16x16x32_fp8_fp8 v[8:11], a[100:101], a[12:13], v[8:11]// 000000004764: D3F30008 1C221964
	v_mfma_f32_16x16x32_fp8_fp8 v[8:11], a[102:103], a[14:15], v[8:11]// 00000000476C: D3F30008 1C221D66
	v_fma_f32 v80, v12, v4, v80                                // 000000004774: D1CB0050 0542090C
	v_fma_f32 v81, v13, v4, v81                                // 00000000477C: D1CB0051 0546090D
	v_fma_f32 v82, v14, v4, v82                                // 000000004784: D1CB0052 054A090E
	v_fma_f32 v83, v15, v4, v83                                // 00000000478C: D1CB0053 054E090F
	v_mfma_f32_16x16x32_fp8_fp8 v[12:15], a[104:105], a[8:9], 0// 000000004794: D3F3000C 1A021168
	v_mfma_f32_16x16x32_fp8_fp8 v[12:15], a[106:107], a[10:11], v[12:15]// 00000000479C: D3F3000C 1C32156A
	buffer_load_dwordx4 a[28:31], v37, s[84:87], 0 offen offset:1024// 0000000047A4: E05C1400 80951C25
	v_mfma_f32_16x16x32_fp8_fp8 v[12:15], a[108:109], a[12:13], v[12:15]// 0000000047AC: D3F3000C 1C32196C
	v_mfma_f32_16x16x32_fp8_fp8 v[12:15], a[110:111], a[14:15], v[12:15]// 0000000047B4: D3F3000C 1C321D6E
	v_fma_f32 v84, v8, v6, v84                                 // 0000000047BC: D1CB0054 05520D08
	v_fma_f32 v85, v9, v6, v85                                 // 0000000047C4: D1CB0055 05560D09
	v_fma_f32 v86, v10, v6, v86                                // 0000000047CC: D1CB0056 055A0D0A
	v_fma_f32 v87, v11, v6, v87                                // 0000000047D4: D1CB0057 055E0D0B
	v_mul_f32_dpp v4, v27, v31 row_newbcast:2 row_mask:0xf bank_mask:0xf// 0000000047DC: 0A083EFA FF01521B
	v_mfma_f32_16x16x32_fp8_fp8 v[8:11], a[112:113], a[8:9], 0 // 0000000047E4: D3F30008 1A021170
	v_mfma_f32_16x16x32_fp8_fp8 v[8:11], a[114:115], a[10:11], v[8:11]// 0000000047EC: D3F30008 1C221572
	buffer_load_dwordx4 a[32:35], v38, s[84:87], 0 offen       // 0000000047F4: E05C1000 80952026
	v_mfma_f32_16x16x32_fp8_fp8 v[8:11], a[116:117], a[12:13], v[8:11]// 0000000047FC: D3F30008 1C221974
	v_mfma_f32_16x16x32_fp8_fp8 v[8:11], a[118:119], a[14:15], v[8:11]// 000000004804: D3F30008 1C221D76
	v_fma_f32 v88, v12, v6, v88                                // 00000000480C: D1CB0058 05620D0C
	v_fma_f32 v89, v13, v6, v89                                // 000000004814: D1CB0059 05660D0D
	v_fma_f32 v90, v14, v6, v90                                // 00000000481C: D1CB005A 056A0D0E
	v_fma_f32 v91, v15, v6, v91                                // 000000004824: D1CB005B 056E0D0F
	v_mfma_f32_16x16x32_fp8_fp8 v[12:15], a[120:121], a[8:9], 0// 00000000482C: D3F3000C 1A021178
	v_mfma_f32_16x16x32_fp8_fp8 v[12:15], a[122:123], a[10:11], v[12:15]// 000000004834: D3F3000C 1C32157A
	buffer_load_dwordx4 a[36:39], v38, s[84:87], 0 offen offset:1024// 00000000483C: E05C1400 80952426
	v_mfma_f32_16x16x32_fp8_fp8 v[12:15], a[124:125], a[12:13], v[12:15]// 000000004844: D3F3000C 1C32197C
	v_mfma_f32_16x16x32_fp8_fp8 v[12:15], a[126:127], a[14:15], v[12:15]// 00000000484C: D3F3000C 1C321D7E
	v_fma_f32 v92, v8, v4, v92                                 // 000000004854: D1CB005C 05720908
	v_fma_f32 v93, v9, v4, v93                                 // 00000000485C: D1CB005D 05760909
	v_fma_f32 v94, v10, v4, v94                                // 000000004864: D1CB005E 057A090A
	v_fma_f32 v95, v11, v4, v95                                // 00000000486C: D1CB005F 057E090B
	v_mul_f32_dpp v6, v27, v31 row_newbcast:3 row_mask:0xf bank_mask:0xf// 000000004874: 0A0C3EFA FF01531B
	v_mfma_f32_16x16x32_fp8_fp8 v[8:11], a[128:129], a[8:9], 0 // 00000000487C: D3F30008 1A021180
	s_add_u32 s60, 0x180, s80                                  // 000000004884: 803C50FF 00000180
	s_cmp_lt_u32 s60, s81                                      // 00000000488C: BF0A513C
	s_cselect_b32 s57, s57, 0                                  // 000000004890: 85398039
	s_cselect_b32 s3, s3, 0                                    // 000000004894: 85038003
	v_mfma_f32_16x16x32_fp8_fp8 v[8:11], a[130:131], a[10:11], v[8:11]// 000000004898: D3F30008 1C221582
	buffer_load_dwordx4 a[40:43], v39, s[84:87], 0 offen       // 0000000048A0: E05C1000 80952827
	s_add_u32 s60, 0x100, s80                                  // 0000000048A8: 803C50FF 00000100
	s_cmp_lt_u32 s60, s81                                      // 0000000048B0: BF0A513C
	s_cselect_b32 s58, s58, 0                                  // 0000000048B4: 853A803A
	v_mfma_f32_16x16x32_fp8_fp8 v[8:11], a[132:133], a[12:13], v[8:11]// 0000000048B8: D3F30008 1C221984
	s_add_u32 s60, 0x100, s80                                  // 0000000048C0: 803C50FF 00000100
	s_cmp_lt_u32 s60, s81                                      // 0000000048C8: BF0A513C
	s_cselect_b32 s83, s83, 0                                  // 0000000048CC: 85538053
	s_cselect_b32 s4, s4, 0                                    // 0000000048D0: 85048004
	v_mfma_f32_16x16x32_fp8_fp8 v[8:11], a[134:135], a[14:15], v[8:11]// 0000000048D4: D3F30008 1C221D86
	s_add_u32 s24, s58, s24                                    // 0000000048DC: 8018183A
	s_addc_u32 s25, 0, s25                                     // 0000000048E0: 82191980
	v_fma_f32 v96, v12, v4, v96                                // 0000000048E4: D1CB0060 0582090C
	v_fma_f32 v97, v13, v4, v97                                // 0000000048EC: D1CB0061 0586090D
	v_fma_f32 v98, v14, v4, v98                                // 0000000048F4: D1CB0062 058A090E
	v_fma_f32 v99, v15, v4, v99                                // 0000000048FC: D1CB0063 058E090F
	v_mfma_f32_16x16x32_fp8_fp8 v[12:15], a[136:137], a[8:9], 0// 000000004904: D3F3000C 1A021188
	s_add_u32 s20, s57, s20                                    // 00000000490C: 80141439
	s_addc_u32 s21, 0, s21                                     // 000000004910: 82151580
	s_add_u32 s28, s3, s28                                     // 000000004914: 801C1C03
	s_addc_u32 s29, 0, s29                                     // 000000004918: 821D1D80
	v_mfma_f32_16x16x32_fp8_fp8 v[12:15], a[138:139], a[10:11], v[12:15]// 00000000491C: D3F3000C 1C32158A
	buffer_load_dwordx4 a[44:47], v39, s[84:87], 0 offen offset:1024// 000000004924: E05C1400 80952C27
	v_mfma_f32_16x16x32_fp8_fp8 v[12:15], a[140:141], a[12:13], v[12:15]// 00000000492C: D3F3000C 1C32198C
	s_add_u32 s32, s4, s32                                     // 000000004934: 80202004
	s_addc_u32 s33, 0, s33                                     // 000000004938: 82212180
	v_mfma_f32_16x16x32_fp8_fp8 v[12:15], a[142:143], a[14:15], v[12:15]// 00000000493C: D3F3000C 1C321D8E
	v_fma_f32 v100, v8, v6, v100                               // 000000004944: D1CB0064 05920D08
	v_fma_f32 v101, v9, v6, v101                               // 00000000494C: D1CB0065 05960D09
	v_fma_f32 v102, v10, v6, v102                              // 000000004954: D1CB0066 059A0D0A
	v_fma_f32 v103, v11, v6, v103                              // 00000000495C: D1CB0067 059E0D0B
	v_fma_f32 v104, v12, v6, v104                              // 000000004964: D1CB0068 05A20D0C
	v_fma_f32 v105, v13, v6, v105                              // 00000000496C: D1CB0069 05A60D0D
	v_fma_f32 v106, v14, v6, v106                              // 000000004974: D1CB006A 05AA0D0E
	v_fma_f32 v107, v15, v6, v107                              // 00000000497C: D1CB006B 05AE0D0F
	buffer_load_dwordx4 a[48:51], v40, s[84:87], 0 offen       // 000000004984: E05C1000 80953028
	buffer_load_dwordx4 a[52:55], v40, s[84:87], 0 offen offset:1024// 00000000498C: E05C1400 80953428
	buffer_load_dwordx4 a[56:59], v41, s[84:87], 0 offen       // 000000004994: E05C1000 80953829
	buffer_load_dwordx4 a[60:63], v41, s[84:87], 0 offen offset:1024// 00000000499C: E05C1400 80953C29
	buffer_load_dwordx4 a[64:67], v42, s[84:87], 0 offen       // 0000000049A4: E05C1000 8095402A
	buffer_load_dwordx4 a[68:71], v42, s[84:87], 0 offen offset:1024// 0000000049AC: E05C1400 8095442A
	buffer_load_dwordx4 a[72:75], v43, s[84:87], 0 offen       // 0000000049B4: E05C1000 8095482B
	buffer_load_dwordx4 a[76:79], v43, s[84:87], 0 offen offset:1024// 0000000049BC: E05C1400 80954C2B
	s_add_u32 s84, s83, s84                                    // 0000000049C4: 80545453
	s_addc_u32 s85, 0, s85                                     // 0000000049C8: 82555580
	s_addk_i32 s80, 0x80                                       // 0000000049CC: B7500080
	s_cmp_lt_i32 s80, s81                                      // 0000000049D0: BF045150
	s_cbranch_scc0 label_0AF5                                  // 0000000049D4: BF8402FF
	s_waitcnt vmcnt(20) lgkmcnt(0)                             // 0000000049D8: BF8C4074
	v_mul_f32_dpp v4, v25, v32 row_newbcast:0 row_mask:0xf bank_mask:0xf// 0000000049DC: 0A0840FA FF015019
	v_mfma_f32_16x16x32_fp8_fp8 v[8:11], a[144:145], a[0:1], 0 // 0000000049E4: D3F30008 1A020190
	buffer_load_dword v26, v22, s[32:35], 0 offen              // 0000000049EC: E0501000 80081A16
	v_mfma_f32_16x16x32_fp8_fp8 v[8:11], a[146:147], a[2:3], v[8:11]// 0000000049F4: D3F30008 1C220592
	buffer_load_dwordx4 a[80:83], v36, s[24:27], 0 offen       // 0000000049FC: E05C1000 80865024
	v_mfma_f32_16x16x32_fp8_fp8 v[8:11], a[148:149], a[4:5], v[8:11]// 000000004A04: D3F30008 1C220994
	v_mfma_f32_16x16x32_fp8_fp8 v[8:11], a[150:151], a[6:7], v[8:11]// 000000004A0C: D3F30008 1C220D96
	v_mfma_f32_16x16x32_fp8_fp8 v[12:15], a[152:153], a[0:1], 0// 000000004A14: D3F3000C 1A020198
	v_mfma_f32_16x16x32_fp8_fp8 v[12:15], a[154:155], a[2:3], v[12:15]// 000000004A1C: D3F3000C 1C32059A
	buffer_load_dwordx4 a[84:87], v36, s[24:27], 0 offen offset:1024// 000000004A24: E05C1400 80865424
	v_mfma_f32_16x16x32_fp8_fp8 v[12:15], a[156:157], a[4:5], v[12:15]// 000000004A2C: D3F3000C 1C32099C
	v_mfma_f32_16x16x32_fp8_fp8 v[12:15], a[158:159], a[6:7], v[12:15]// 000000004A34: D3F3000C 1C320D9E
	v_fma_f32 v44, v8, v4, v44                                 // 000000004A3C: D1CB002C 04B20908
	v_fma_f32 v45, v9, v4, v45                                 // 000000004A44: D1CB002D 04B60909
	v_fma_f32 v46, v10, v4, v46                                // 000000004A4C: D1CB002E 04BA090A
	v_fma_f32 v47, v11, v4, v47                                // 000000004A54: D1CB002F 04BE090B
	v_mul_f32_dpp v6, v25, v32 row_newbcast:1 row_mask:0xf bank_mask:0xf// 000000004A5C: 0A0C40FA FF015119
	v_mfma_f32_16x16x32_fp8_fp8 v[8:11], a[160:161], a[0:1], 0 // 000000004A64: D3F30008 1A0201A0
	v_mfma_f32_16x16x32_fp8_fp8 v[8:11], a[162:163], a[2:3], v[8:11]// 000000004A6C: D3F30008 1C2205A2
	buffer_load_dwordx4 a[88:91], v37, s[24:27], 0 offen       // 000000004A74: E05C1000 80865825
	v_mfma_f32_16x16x32_fp8_fp8 v[8:11], a[164:165], a[4:5], v[8:11]// 000000004A7C: D3F30008 1C2209A4
	v_mfma_f32_16x16x32_fp8_fp8 v[8:11], a[166:167], a[6:7], v[8:11]// 000000004A84: D3F30008 1C220DA6
	v_fma_f32 v48, v12, v4, v48                                // 000000004A8C: D1CB0030 04C2090C
	v_fma_f32 v49, v13, v4, v49                                // 000000004A94: D1CB0031 04C6090D
	v_fma_f32 v50, v14, v4, v50                                // 000000004A9C: D1CB0032 04CA090E
	v_fma_f32 v51, v15, v4, v51                                // 000000004AA4: D1CB0033 04CE090F
	v_mfma_f32_16x16x32_fp8_fp8 v[12:15], a[168:169], a[0:1], 0// 000000004AAC: D3F3000C 1A0201A8
	v_mfma_f32_16x16x32_fp8_fp8 v[12:15], a[170:171], a[2:3], v[12:15]// 000000004AB4: D3F3000C 1C3205AA
	buffer_load_dwordx4 a[92:95], v37, s[24:27], 0 offen offset:1024// 000000004ABC: E05C1400 80865C25
	v_mfma_f32_16x16x32_fp8_fp8 v[12:15], a[172:173], a[4:5], v[12:15]// 000000004AC4: D3F3000C 1C3209AC
	v_mfma_f32_16x16x32_fp8_fp8 v[12:15], a[174:175], a[6:7], v[12:15]// 000000004ACC: D3F3000C 1C320DAE
	v_fma_f32 v52, v8, v6, v52                                 // 000000004AD4: D1CB0034 04D20D08
	v_fma_f32 v53, v9, v6, v53                                 // 000000004ADC: D1CB0035 04D60D09
	v_fma_f32 v54, v10, v6, v54                                // 000000004AE4: D1CB0036 04DA0D0A
	v_fma_f32 v55, v11, v6, v55                                // 000000004AEC: D1CB0037 04DE0D0B
	v_mul_f32_dpp v4, v25, v32 row_newbcast:2 row_mask:0xf bank_mask:0xf// 000000004AF4: 0A0840FA FF015219
	v_mfma_f32_16x16x32_fp8_fp8 v[8:11], a[176:177], a[0:1], 0 // 000000004AFC: D3F30008 1A0201B0
	v_mfma_f32_16x16x32_fp8_fp8 v[8:11], a[178:179], a[2:3], v[8:11]// 000000004B04: D3F30008 1C2205B2
	buffer_load_dwordx4 a[96:99], v38, s[24:27], 0 offen       // 000000004B0C: E05C1000 80866026
	v_mfma_f32_16x16x32_fp8_fp8 v[8:11], a[180:181], a[4:5], v[8:11]// 000000004B14: D3F30008 1C2209B4
	v_mfma_f32_16x16x32_fp8_fp8 v[8:11], a[182:183], a[6:7], v[8:11]// 000000004B1C: D3F30008 1C220DB6
	v_fma_f32 v56, v12, v6, v56                                // 000000004B24: D1CB0038 04E20D0C
	v_fma_f32 v57, v13, v6, v57                                // 000000004B2C: D1CB0039 04E60D0D
	v_fma_f32 v58, v14, v6, v58                                // 000000004B34: D1CB003A 04EA0D0E
	v_fma_f32 v59, v15, v6, v59                                // 000000004B3C: D1CB003B 04EE0D0F
	v_mfma_f32_16x16x32_fp8_fp8 v[12:15], a[184:185], a[0:1], 0// 000000004B44: D3F3000C 1A0201B8
	v_mfma_f32_16x16x32_fp8_fp8 v[12:15], a[186:187], a[2:3], v[12:15]// 000000004B4C: D3F3000C 1C3205BA
	buffer_load_dwordx4 a[100:103], v38, s[24:27], 0 offen offset:1024// 000000004B54: E05C1400 80866426
	v_mfma_f32_16x16x32_fp8_fp8 v[12:15], a[188:189], a[4:5], v[12:15]// 000000004B5C: D3F3000C 1C3209BC
	v_mfma_f32_16x16x32_fp8_fp8 v[12:15], a[190:191], a[6:7], v[12:15]// 000000004B64: D3F3000C 1C320DBE
	v_fma_f32 v60, v8, v4, v60                                 // 000000004B6C: D1CB003C 04F20908
	v_fma_f32 v61, v9, v4, v61                                 // 000000004B74: D1CB003D 04F60909
	v_fma_f32 v62, v10, v4, v62                                // 000000004B7C: D1CB003E 04FA090A
	v_fma_f32 v63, v11, v4, v63                                // 000000004B84: D1CB003F 04FE090B
	v_mul_f32_dpp v6, v25, v32 row_newbcast:3 row_mask:0xf bank_mask:0xf// 000000004B8C: 0A0C40FA FF015319
	v_mfma_f32_16x16x32_fp8_fp8 v[8:11], a[192:193], a[0:1], 0 // 000000004B94: D3F30008 1A0201C0
	v_mfma_f32_16x16x32_fp8_fp8 v[8:11], a[194:195], a[2:3], v[8:11]// 000000004B9C: D3F30008 1C2205C2
	buffer_load_dwordx4 a[104:107], v39, s[24:27], 0 offen     // 000000004BA4: E05C1000 80866827
	v_mfma_f32_16x16x32_fp8_fp8 v[8:11], a[196:197], a[4:5], v[8:11]// 000000004BAC: D3F30008 1C2209C4
	v_mfma_f32_16x16x32_fp8_fp8 v[8:11], a[198:199], a[6:7], v[8:11]// 000000004BB4: D3F30008 1C220DC6
	v_fma_f32 v64, v12, v4, v64                                // 000000004BBC: D1CB0040 0502090C
	v_fma_f32 v65, v13, v4, v65                                // 000000004BC4: D1CB0041 0506090D
	v_fma_f32 v66, v14, v4, v66                                // 000000004BCC: D1CB0042 050A090E
	v_fma_f32 v67, v15, v4, v67                                // 000000004BD4: D1CB0043 050E090F
	v_mfma_f32_16x16x32_fp8_fp8 v[12:15], a[200:201], a[0:1], 0// 000000004BDC: D3F3000C 1A0201C8
	v_mfma_f32_16x16x32_fp8_fp8 v[12:15], a[202:203], a[2:3], v[12:15]// 000000004BE4: D3F3000C 1C3205CA
	buffer_load_dwordx4 a[108:111], v39, s[24:27], 0 offen offset:1024// 000000004BEC: E05C1400 80866C27
	v_mfma_f32_16x16x32_fp8_fp8 v[12:15], a[204:205], a[4:5], v[12:15]// 000000004BF4: D3F3000C 1C3209CC
	v_mfma_f32_16x16x32_fp8_fp8 v[12:15], a[206:207], a[6:7], v[12:15]// 000000004BFC: D3F3000C 1C320DCE
	v_fma_f32 v68, v8, v6, v68                                 // 000000004C04: D1CB0044 05120D08
	v_fma_f32 v69, v9, v6, v69                                 // 000000004C0C: D1CB0045 05160D09
	v_fma_f32 v70, v10, v6, v70                                // 000000004C14: D1CB0046 051A0D0A
	v_fma_f32 v71, v11, v6, v71                                // 000000004C1C: D1CB0047 051E0D0B
	v_fma_f32 v72, v12, v6, v72                                // 000000004C24: D1CB0048 05220D0C
	v_fma_f32 v73, v13, v6, v73                                // 000000004C2C: D1CB0049 05260D0D
	v_fma_f32 v74, v14, v6, v74                                // 000000004C34: D1CB004A 052A0D0E
	v_fma_f32 v75, v15, v6, v75                                // 000000004C3C: D1CB004B 052E0D0F
	buffer_load_dwordx4 a[112:115], v40, s[24:27], 0 offen     // 000000004C44: E05C1000 80867028
	buffer_load_dwordx4 a[116:119], v40, s[24:27], 0 offen offset:1024// 000000004C4C: E05C1400 80867428
	buffer_load_dwordx4 a[120:123], v41, s[24:27], 0 offen     // 000000004C54: E05C1000 80867829
	buffer_load_dwordx4 a[124:127], v41, s[24:27], 0 offen offset:1024// 000000004C5C: E05C1400 80867C29
	buffer_load_dwordx4 a[128:131], v42, s[24:27], 0 offen     // 000000004C64: E05C1000 8086802A
	buffer_load_dwordx4 a[132:135], v42, s[24:27], 0 offen offset:1024// 000000004C6C: E05C1400 8086842A
	buffer_load_dwordx4 a[136:139], v43, s[24:27], 0 offen     // 000000004C74: E05C1000 8086882B
	buffer_load_dwordx4 a[140:143], v43, s[24:27], 0 offen offset:1024// 000000004C7C: E05C1400 80868C2B
	buffer_load_dword v34, s[20:23], 0 offen lds               // 000000004C84: E0511000 80050022
	s_add_u32 m0, 0x100, s48                                   // 000000004C8C: 807C30FF 00000100
	buffer_load_dword v35, s[20:23], 0 offen lds               // 000000004C94: E0511000 80050023
	s_add_u32 m0, 0, s49                                       // 000000004C9C: 807C3180
	buffer_load_dword v31, v30, s[28:31], 0 offen              // 000000004CA0: E0501000 80071F1E
	s_waitcnt vmcnt(20)                                        // 000000004CA8: BF8C4F74
	s_barrier                                                  // 000000004CAC: BF8A0000
	v_mul_f32_dpp v4, v28, v32 row_newbcast:0 row_mask:0xf bank_mask:0xf// 000000004CB0: 0A0840FA FF01501C
	v_mfma_f32_16x16x32_fp8_fp8 v[8:11], a[16:17], a[0:1], 0   // 000000004CB8: D3F30008 1A020110
	buffer_load_dword v29, v23, s[32:35], 0 offen              // 000000004CC0: E0501000 80081D17
	v_mfma_f32_16x16x32_fp8_fp8 v[8:11], a[18:19], a[2:3], v[8:11]// 000000004CC8: D3F30008 1C220512
	buffer_load_dwordx4 a[144:147], v36, s[84:87], 0 offen     // 000000004CD0: E05C1000 80959024
	v_mfma_f32_16x16x32_fp8_fp8 v[8:11], a[20:21], a[4:5], v[8:11]// 000000004CD8: D3F30008 1C220914
	v_mfma_f32_16x16x32_fp8_fp8 v[8:11], a[22:23], a[6:7], v[8:11]// 000000004CE0: D3F30008 1C220D16
	ds_read_b128 a[8:11], v2 offset:4352                       // 000000004CE8: DBFE1100 08000002
	ds_read_b128 a[12:15], v2 offset:4416                      // 000000004CF0: DBFE1140 0C000002
	v_mfma_f32_16x16x32_fp8_fp8 v[12:15], a[24:25], a[0:1], 0  // 000000004CF8: D3F3000C 1A020118
	v_mfma_f32_16x16x32_fp8_fp8 v[12:15], a[26:27], a[2:3], v[12:15]// 000000004D00: D3F3000C 1C32051A
	buffer_load_dwordx4 a[148:151], v36, s[84:87], 0 offen offset:1024// 000000004D08: E05C1400 80959424
	v_mfma_f32_16x16x32_fp8_fp8 v[12:15], a[28:29], a[4:5], v[12:15]// 000000004D10: D3F3000C 1C32091C
	v_mfma_f32_16x16x32_fp8_fp8 v[12:15], a[30:31], a[6:7], v[12:15]// 000000004D18: D3F3000C 1C320D1E
	v_fma_f32 v76, v8, v4, v76                                 // 000000004D20: D1CB004C 05320908
	v_fma_f32 v77, v9, v4, v77                                 // 000000004D28: D1CB004D 05360909
	v_fma_f32 v78, v10, v4, v78                                // 000000004D30: D1CB004E 053A090A
	v_fma_f32 v79, v11, v4, v79                                // 000000004D38: D1CB004F 053E090B
	v_mul_f32_dpp v6, v28, v32 row_newbcast:1 row_mask:0xf bank_mask:0xf// 000000004D40: 0A0C40FA FF01511C
	v_mfma_f32_16x16x32_fp8_fp8 v[8:11], a[32:33], a[0:1], 0   // 000000004D48: D3F30008 1A020120
	v_mfma_f32_16x16x32_fp8_fp8 v[8:11], a[34:35], a[2:3], v[8:11]// 000000004D50: D3F30008 1C220522
	buffer_load_dwordx4 a[152:155], v37, s[84:87], 0 offen     // 000000004D58: E05C1000 80959825
	v_mfma_f32_16x16x32_fp8_fp8 v[8:11], a[36:37], a[4:5], v[8:11]// 000000004D60: D3F30008 1C220924
	v_mfma_f32_16x16x32_fp8_fp8 v[8:11], a[38:39], a[6:7], v[8:11]// 000000004D68: D3F30008 1C220D26
	v_fma_f32 v80, v12, v4, v80                                // 000000004D70: D1CB0050 0542090C
	v_fma_f32 v81, v13, v4, v81                                // 000000004D78: D1CB0051 0546090D
	v_fma_f32 v82, v14, v4, v82                                // 000000004D80: D1CB0052 054A090E
	v_fma_f32 v83, v15, v4, v83                                // 000000004D88: D1CB0053 054E090F
	v_mfma_f32_16x16x32_fp8_fp8 v[12:15], a[40:41], a[0:1], 0  // 000000004D90: D3F3000C 1A020128
	v_mfma_f32_16x16x32_fp8_fp8 v[12:15], a[42:43], a[2:3], v[12:15]// 000000004D98: D3F3000C 1C32052A
	buffer_load_dwordx4 a[156:159], v37, s[84:87], 0 offen offset:1024// 000000004DA0: E05C1400 80959C25
	v_mfma_f32_16x16x32_fp8_fp8 v[12:15], a[44:45], a[4:5], v[12:15]// 000000004DA8: D3F3000C 1C32092C
	v_mfma_f32_16x16x32_fp8_fp8 v[12:15], a[46:47], a[6:7], v[12:15]// 000000004DB0: D3F3000C 1C320D2E
	v_fma_f32 v84, v8, v6, v84                                 // 000000004DB8: D1CB0054 05520D08
	v_fma_f32 v85, v9, v6, v85                                 // 000000004DC0: D1CB0055 05560D09
	v_fma_f32 v86, v10, v6, v86                                // 000000004DC8: D1CB0056 055A0D0A
	v_fma_f32 v87, v11, v6, v87                                // 000000004DD0: D1CB0057 055E0D0B
	v_mul_f32_dpp v4, v28, v32 row_newbcast:2 row_mask:0xf bank_mask:0xf// 000000004DD8: 0A0840FA FF01521C
	v_mfma_f32_16x16x32_fp8_fp8 v[8:11], a[48:49], a[0:1], 0   // 000000004DE0: D3F30008 1A020130
	v_mfma_f32_16x16x32_fp8_fp8 v[8:11], a[50:51], a[2:3], v[8:11]// 000000004DE8: D3F30008 1C220532
	buffer_load_dwordx4 a[160:163], v38, s[84:87], 0 offen     // 000000004DF0: E05C1000 8095A026
	v_mfma_f32_16x16x32_fp8_fp8 v[8:11], a[52:53], a[4:5], v[8:11]// 000000004DF8: D3F30008 1C220934
	v_mfma_f32_16x16x32_fp8_fp8 v[8:11], a[54:55], a[6:7], v[8:11]// 000000004E00: D3F30008 1C220D36
	v_fma_f32 v88, v12, v6, v88                                // 000000004E08: D1CB0058 05620D0C
	v_fma_f32 v89, v13, v6, v89                                // 000000004E10: D1CB0059 05660D0D
	v_fma_f32 v90, v14, v6, v90                                // 000000004E18: D1CB005A 056A0D0E
	v_fma_f32 v91, v15, v6, v91                                // 000000004E20: D1CB005B 056E0D0F
	v_mfma_f32_16x16x32_fp8_fp8 v[12:15], a[56:57], a[0:1], 0  // 000000004E28: D3F3000C 1A020138
	v_mfma_f32_16x16x32_fp8_fp8 v[12:15], a[58:59], a[2:3], v[12:15]// 000000004E30: D3F3000C 1C32053A
	buffer_load_dwordx4 a[164:167], v38, s[84:87], 0 offen offset:1024// 000000004E38: E05C1400 8095A426
	v_mfma_f32_16x16x32_fp8_fp8 v[12:15], a[60:61], a[4:5], v[12:15]// 000000004E40: D3F3000C 1C32093C
	v_mfma_f32_16x16x32_fp8_fp8 v[12:15], a[62:63], a[6:7], v[12:15]// 000000004E48: D3F3000C 1C320D3E
	v_fma_f32 v92, v8, v4, v92                                 // 000000004E50: D1CB005C 05720908
	v_fma_f32 v93, v9, v4, v93                                 // 000000004E58: D1CB005D 05760909
	v_fma_f32 v94, v10, v4, v94                                // 000000004E60: D1CB005E 057A090A
	v_fma_f32 v95, v11, v4, v95                                // 000000004E68: D1CB005F 057E090B
	v_mul_f32_dpp v6, v28, v32 row_newbcast:3 row_mask:0xf bank_mask:0xf// 000000004E70: 0A0C40FA FF01531C
	v_mfma_f32_16x16x32_fp8_fp8 v[8:11], a[64:65], a[0:1], 0   // 000000004E78: D3F30008 1A020140
	s_add_u32 s60, 0x180, s80                                  // 000000004E80: 803C50FF 00000180
	s_cmp_lt_u32 s60, s81                                      // 000000004E88: BF0A513C
	s_cselect_b32 s57, s57, 0                                  // 000000004E8C: 85398039
	s_cselect_b32 s3, s3, 0                                    // 000000004E90: 85038003
	v_mfma_f32_16x16x32_fp8_fp8 v[8:11], a[66:67], a[2:3], v[8:11]// 000000004E94: D3F30008 1C220542
	buffer_load_dwordx4 a[168:171], v39, s[84:87], 0 offen     // 000000004E9C: E05C1000 8095A827
	s_add_u32 s60, 0x100, s80                                  // 000000004EA4: 803C50FF 00000100
	s_cmp_lt_u32 s60, s81                                      // 000000004EAC: BF0A513C
	s_cselect_b32 s58, s58, 0                                  // 000000004EB0: 853A803A
	v_mfma_f32_16x16x32_fp8_fp8 v[8:11], a[68:69], a[4:5], v[8:11]// 000000004EB4: D3F30008 1C220944
	s_add_u32 s60, 0x100, s80                                  // 000000004EBC: 803C50FF 00000100
	s_cmp_lt_u32 s60, s81                                      // 000000004EC4: BF0A513C
	s_cselect_b32 s83, s83, 0                                  // 000000004EC8: 85538053
	s_cselect_b32 s4, s4, 0                                    // 000000004ECC: 85048004
	v_mfma_f32_16x16x32_fp8_fp8 v[8:11], a[70:71], a[6:7], v[8:11]// 000000004ED0: D3F30008 1C220D46
	s_add_u32 s24, s58, s24                                    // 000000004ED8: 8018183A
	s_addc_u32 s25, 0, s25                                     // 000000004EDC: 82191980
	v_fma_f32 v96, v12, v4, v96                                // 000000004EE0: D1CB0060 0582090C
	v_fma_f32 v97, v13, v4, v97                                // 000000004EE8: D1CB0061 0586090D
	v_fma_f32 v98, v14, v4, v98                                // 000000004EF0: D1CB0062 058A090E
	v_fma_f32 v99, v15, v4, v99                                // 000000004EF8: D1CB0063 058E090F
	v_mfma_f32_16x16x32_fp8_fp8 v[12:15], a[72:73], a[0:1], 0  // 000000004F00: D3F3000C 1A020148
	s_add_u32 s20, s57, s20                                    // 000000004F08: 80141439
	s_addc_u32 s21, 0, s21                                     // 000000004F0C: 82151580
	s_add_u32 s28, s3, s28                                     // 000000004F10: 801C1C03
	s_addc_u32 s29, 0, s29                                     // 000000004F14: 821D1D80
	v_mfma_f32_16x16x32_fp8_fp8 v[12:15], a[74:75], a[2:3], v[12:15]// 000000004F18: D3F3000C 1C32054A
	buffer_load_dwordx4 a[172:175], v39, s[84:87], 0 offen offset:1024// 000000004F20: E05C1400 8095AC27
	v_mfma_f32_16x16x32_fp8_fp8 v[12:15], a[76:77], a[4:5], v[12:15]// 000000004F28: D3F3000C 1C32094C
	s_add_u32 s32, s4, s32                                     // 000000004F30: 80202004
	s_addc_u32 s33, 0, s33                                     // 000000004F34: 82212180
	v_mfma_f32_16x16x32_fp8_fp8 v[12:15], a[78:79], a[6:7], v[12:15]// 000000004F38: D3F3000C 1C320D4E
	v_fma_f32 v100, v8, v6, v100                               // 000000004F40: D1CB0064 05920D08
	v_fma_f32 v101, v9, v6, v101                               // 000000004F48: D1CB0065 05960D09
	v_fma_f32 v102, v10, v6, v102                              // 000000004F50: D1CB0066 059A0D0A
	v_fma_f32 v103, v11, v6, v103                              // 000000004F58: D1CB0067 059E0D0B
	v_fma_f32 v104, v12, v6, v104                              // 000000004F60: D1CB0068 05A20D0C
	v_fma_f32 v105, v13, v6, v105                              // 000000004F68: D1CB0069 05A60D0D
	v_fma_f32 v106, v14, v6, v106                              // 000000004F70: D1CB006A 05AA0D0E
	v_fma_f32 v107, v15, v6, v107                              // 000000004F78: D1CB006B 05AE0D0F
	buffer_load_dwordx4 a[176:179], v40, s[84:87], 0 offen     // 000000004F80: E05C1000 8095B028
	buffer_load_dwordx4 a[180:183], v40, s[84:87], 0 offen offset:1024// 000000004F88: E05C1400 8095B428
	buffer_load_dwordx4 a[184:187], v41, s[84:87], 0 offen     // 000000004F90: E05C1000 8095B829
	buffer_load_dwordx4 a[188:191], v41, s[84:87], 0 offen offset:1024// 000000004F98: E05C1400 8095BC29
	buffer_load_dwordx4 a[192:195], v42, s[84:87], 0 offen     // 000000004FA0: E05C1000 8095C02A
	buffer_load_dwordx4 a[196:199], v42, s[84:87], 0 offen offset:1024// 000000004FA8: E05C1400 8095C42A
	buffer_load_dwordx4 a[200:203], v43, s[84:87], 0 offen     // 000000004FB0: E05C1000 8095C82B
	buffer_load_dwordx4 a[204:207], v43, s[84:87], 0 offen offset:1024// 000000004FB8: E05C1400 8095CC2B
	s_add_u32 s84, s83, s84                                    // 000000004FC0: 80545453
	s_addc_u32 s85, 0, s85                                     // 000000004FC4: 82555580
	s_addk_i32 s80, 0x80                                       // 000000004FC8: B7500080
	s_cmp_lt_i32 s80, s81                                      // 000000004FCC: BF045150
	s_cbranch_scc0 label_0AF5                                  // 000000004FD0: BF840180
	s_waitcnt vmcnt(20) lgkmcnt(0)                             // 000000004FD4: BF8C4074
	v_mul_f32_dpp v4, v26, v33 row_newbcast:0 row_mask:0xf bank_mask:0xf// 000000004FD8: 0A0842FA FF01501A
	v_mfma_f32_16x16x32_fp8_fp8 v[8:11], a[80:81], a[8:9], 0   // 000000004FE0: D3F30008 1A021150
	buffer_load_dword v24, v22, s[32:35], 0 offen              // 000000004FE8: E0501000 80081816
	v_mfma_f32_16x16x32_fp8_fp8 v[8:11], a[82:83], a[10:11], v[8:11]// 000000004FF0: D3F30008 1C221552
	buffer_load_dwordx4 a[16:19], v36, s[24:27], 0 offen       // 000000004FF8: E05C1000 80861024
	v_mfma_f32_16x16x32_fp8_fp8 v[8:11], a[84:85], a[12:13], v[8:11]// 000000005000: D3F30008 1C221954
	v_mfma_f32_16x16x32_fp8_fp8 v[8:11], a[86:87], a[14:15], v[8:11]// 000000005008: D3F30008 1C221D56
	v_mfma_f32_16x16x32_fp8_fp8 v[12:15], a[88:89], a[8:9], 0  // 000000005010: D3F3000C 1A021158
	v_mfma_f32_16x16x32_fp8_fp8 v[12:15], a[90:91], a[10:11], v[12:15]// 000000005018: D3F3000C 1C32155A
	buffer_load_dwordx4 a[20:23], v36, s[24:27], 0 offen offset:1024// 000000005020: E05C1400 80861424
	v_mfma_f32_16x16x32_fp8_fp8 v[12:15], a[92:93], a[12:13], v[12:15]// 000000005028: D3F3000C 1C32195C
	v_mfma_f32_16x16x32_fp8_fp8 v[12:15], a[94:95], a[14:15], v[12:15]// 000000005030: D3F3000C 1C321D5E
	v_fma_f32 v44, v8, v4, v44                                 // 000000005038: D1CB002C 04B20908
	v_fma_f32 v45, v9, v4, v45                                 // 000000005040: D1CB002D 04B60909
	v_fma_f32 v46, v10, v4, v46                                // 000000005048: D1CB002E 04BA090A
	v_fma_f32 v47, v11, v4, v47                                // 000000005050: D1CB002F 04BE090B
	v_mul_f32_dpp v6, v26, v33 row_newbcast:1 row_mask:0xf bank_mask:0xf// 000000005058: 0A0C42FA FF01511A
	v_mfma_f32_16x16x32_fp8_fp8 v[8:11], a[96:97], a[8:9], 0   // 000000005060: D3F30008 1A021160
	v_mfma_f32_16x16x32_fp8_fp8 v[8:11], a[98:99], a[10:11], v[8:11]// 000000005068: D3F30008 1C221562
	buffer_load_dwordx4 a[24:27], v37, s[24:27], 0 offen       // 000000005070: E05C1000 80861825
	v_mfma_f32_16x16x32_fp8_fp8 v[8:11], a[100:101], a[12:13], v[8:11]// 000000005078: D3F30008 1C221964
	v_mfma_f32_16x16x32_fp8_fp8 v[8:11], a[102:103], a[14:15], v[8:11]// 000000005080: D3F30008 1C221D66
	v_fma_f32 v48, v12, v4, v48                                // 000000005088: D1CB0030 04C2090C
	v_fma_f32 v49, v13, v4, v49                                // 000000005090: D1CB0031 04C6090D
	v_fma_f32 v50, v14, v4, v50                                // 000000005098: D1CB0032 04CA090E
	v_fma_f32 v51, v15, v4, v51                                // 0000000050A0: D1CB0033 04CE090F
	v_mfma_f32_16x16x32_fp8_fp8 v[12:15], a[104:105], a[8:9], 0// 0000000050A8: D3F3000C 1A021168
	v_mfma_f32_16x16x32_fp8_fp8 v[12:15], a[106:107], a[10:11], v[12:15]// 0000000050B0: D3F3000C 1C32156A
	buffer_load_dwordx4 a[28:31], v37, s[24:27], 0 offen offset:1024// 0000000050B8: E05C1400 80861C25
	v_mfma_f32_16x16x32_fp8_fp8 v[12:15], a[108:109], a[12:13], v[12:15]// 0000000050C0: D3F3000C 1C32196C
	v_mfma_f32_16x16x32_fp8_fp8 v[12:15], a[110:111], a[14:15], v[12:15]// 0000000050C8: D3F3000C 1C321D6E
	v_fma_f32 v52, v8, v6, v52                                 // 0000000050D0: D1CB0034 04D20D08
	v_fma_f32 v53, v9, v6, v53                                 // 0000000050D8: D1CB0035 04D60D09
	v_fma_f32 v54, v10, v6, v54                                // 0000000050E0: D1CB0036 04DA0D0A
	v_fma_f32 v55, v11, v6, v55                                // 0000000050E8: D1CB0037 04DE0D0B
	v_mul_f32_dpp v4, v26, v33 row_newbcast:2 row_mask:0xf bank_mask:0xf// 0000000050F0: 0A0842FA FF01521A
	v_mfma_f32_16x16x32_fp8_fp8 v[8:11], a[112:113], a[8:9], 0 // 0000000050F8: D3F30008 1A021170
	v_mfma_f32_16x16x32_fp8_fp8 v[8:11], a[114:115], a[10:11], v[8:11]// 000000005100: D3F30008 1C221572
	buffer_load_dwordx4 a[32:35], v38, s[24:27], 0 offen       // 000000005108: E05C1000 80862026
	v_mfma_f32_16x16x32_fp8_fp8 v[8:11], a[116:117], a[12:13], v[8:11]// 000000005110: D3F30008 1C221974
	v_mfma_f32_16x16x32_fp8_fp8 v[8:11], a[118:119], a[14:15], v[8:11]// 000000005118: D3F30008 1C221D76
	v_fma_f32 v56, v12, v6, v56                                // 000000005120: D1CB0038 04E20D0C
	v_fma_f32 v57, v13, v6, v57                                // 000000005128: D1CB0039 04E60D0D
	v_fma_f32 v58, v14, v6, v58                                // 000000005130: D1CB003A 04EA0D0E
	v_fma_f32 v59, v15, v6, v59                                // 000000005138: D1CB003B 04EE0D0F
	v_mfma_f32_16x16x32_fp8_fp8 v[12:15], a[120:121], a[8:9], 0// 000000005140: D3F3000C 1A021178
	v_mfma_f32_16x16x32_fp8_fp8 v[12:15], a[122:123], a[10:11], v[12:15]// 000000005148: D3F3000C 1C32157A
	buffer_load_dwordx4 a[36:39], v38, s[24:27], 0 offen offset:1024// 000000005150: E05C1400 80862426
	v_mfma_f32_16x16x32_fp8_fp8 v[12:15], a[124:125], a[12:13], v[12:15]// 000000005158: D3F3000C 1C32197C
	v_mfma_f32_16x16x32_fp8_fp8 v[12:15], a[126:127], a[14:15], v[12:15]// 000000005160: D3F3000C 1C321D7E
	v_fma_f32 v60, v8, v4, v60                                 // 000000005168: D1CB003C 04F20908
	v_fma_f32 v61, v9, v4, v61                                 // 000000005170: D1CB003D 04F60909
	v_fma_f32 v62, v10, v4, v62                                // 000000005178: D1CB003E 04FA090A
	v_fma_f32 v63, v11, v4, v63                                // 000000005180: D1CB003F 04FE090B
	v_mul_f32_dpp v6, v26, v33 row_newbcast:3 row_mask:0xf bank_mask:0xf// 000000005188: 0A0C42FA FF01531A
	v_mfma_f32_16x16x32_fp8_fp8 v[8:11], a[128:129], a[8:9], 0 // 000000005190: D3F30008 1A021180
	v_mfma_f32_16x16x32_fp8_fp8 v[8:11], a[130:131], a[10:11], v[8:11]// 000000005198: D3F30008 1C221582
	buffer_load_dwordx4 a[40:43], v39, s[24:27], 0 offen       // 0000000051A0: E05C1000 80862827
	v_mfma_f32_16x16x32_fp8_fp8 v[8:11], a[132:133], a[12:13], v[8:11]// 0000000051A8: D3F30008 1C221984
	v_mfma_f32_16x16x32_fp8_fp8 v[8:11], a[134:135], a[14:15], v[8:11]// 0000000051B0: D3F30008 1C221D86
	v_fma_f32 v64, v12, v4, v64                                // 0000000051B8: D1CB0040 0502090C
	v_fma_f32 v65, v13, v4, v65                                // 0000000051C0: D1CB0041 0506090D
	v_fma_f32 v66, v14, v4, v66                                // 0000000051C8: D1CB0042 050A090E
	v_fma_f32 v67, v15, v4, v67                                // 0000000051D0: D1CB0043 050E090F
	v_mfma_f32_16x16x32_fp8_fp8 v[12:15], a[136:137], a[8:9], 0// 0000000051D8: D3F3000C 1A021188
	v_mfma_f32_16x16x32_fp8_fp8 v[12:15], a[138:139], a[10:11], v[12:15]// 0000000051E0: D3F3000C 1C32158A
	buffer_load_dwordx4 a[44:47], v39, s[24:27], 0 offen offset:1024// 0000000051E8: E05C1400 80862C27
	v_mfma_f32_16x16x32_fp8_fp8 v[12:15], a[140:141], a[12:13], v[12:15]// 0000000051F0: D3F3000C 1C32198C
	v_mfma_f32_16x16x32_fp8_fp8 v[12:15], a[142:143], a[14:15], v[12:15]// 0000000051F8: D3F3000C 1C321D8E
	v_fma_f32 v68, v8, v6, v68                                 // 000000005200: D1CB0044 05120D08
	v_fma_f32 v69, v9, v6, v69                                 // 000000005208: D1CB0045 05160D09
	v_fma_f32 v70, v10, v6, v70                                // 000000005210: D1CB0046 051A0D0A
	v_fma_f32 v71, v11, v6, v71                                // 000000005218: D1CB0047 051E0D0B
	v_fma_f32 v72, v12, v6, v72                                // 000000005220: D1CB0048 05220D0C
	v_fma_f32 v73, v13, v6, v73                                // 000000005228: D1CB0049 05260D0D
	v_fma_f32 v74, v14, v6, v74                                // 000000005230: D1CB004A 052A0D0E
	v_fma_f32 v75, v15, v6, v75                                // 000000005238: D1CB004B 052E0D0F
	buffer_load_dwordx4 a[48:51], v40, s[24:27], 0 offen       // 000000005240: E05C1000 80863028
	buffer_load_dwordx4 a[52:55], v40, s[24:27], 0 offen offset:1024// 000000005248: E05C1400 80863428
	buffer_load_dwordx4 a[56:59], v41, s[24:27], 0 offen       // 000000005250: E05C1000 80863829
	buffer_load_dwordx4 a[60:63], v41, s[24:27], 0 offen offset:1024// 000000005258: E05C1400 80863C29
	buffer_load_dwordx4 a[64:67], v42, s[24:27], 0 offen       // 000000005260: E05C1000 8086402A
	buffer_load_dwordx4 a[68:71], v42, s[24:27], 0 offen offset:1024// 000000005268: E05C1400 8086442A
	buffer_load_dwordx4 a[72:75], v43, s[24:27], 0 offen       // 000000005270: E05C1000 8086482B
	buffer_load_dwordx4 a[76:79], v43, s[24:27], 0 offen offset:1024// 000000005278: E05C1400 80864C2B
	buffer_load_dword v34, s[20:23], 0 offen lds               // 000000005280: E0511000 80050022
	s_add_u32 m0, 0x100, s49                                   // 000000005288: 807C31FF 00000100
	buffer_load_dword v35, s[20:23], 0 offen lds               // 000000005290: E0511000 80050023
	s_add_u32 m0, 0, s50                                       // 000000005298: 807C3280
	buffer_load_dword v32, v30, s[28:31], 0 offen              // 00000000529C: E0501000 8007201E
	s_waitcnt vmcnt(20)                                        // 0000000052A4: BF8C4F74
	s_barrier                                                  // 0000000052A8: BF8A0000
	v_mul_f32_dpp v4, v29, v33 row_newbcast:0 row_mask:0xf bank_mask:0xf// 0000000052AC: 0A0842FA FF01501D
	v_mfma_f32_16x16x32_fp8_fp8 v[8:11], a[144:145], a[8:9], 0 // 0000000052B4: D3F30008 1A021190
	buffer_load_dword v27, v23, s[32:35], 0 offen              // 0000000052BC: E0501000 80081B17
	v_mfma_f32_16x16x32_fp8_fp8 v[8:11], a[146:147], a[10:11], v[8:11]// 0000000052C4: D3F30008 1C221592
	buffer_load_dwordx4 a[80:83], v36, s[84:87], 0 offen       // 0000000052CC: E05C1000 80955024
	v_mfma_f32_16x16x32_fp8_fp8 v[8:11], a[148:149], a[12:13], v[8:11]// 0000000052D4: D3F30008 1C221994
	v_mfma_f32_16x16x32_fp8_fp8 v[8:11], a[150:151], a[14:15], v[8:11]// 0000000052DC: D3F30008 1C221D96
	ds_read_b128 a[0:3], v2                                    // 0000000052E4: DBFE0000 00000002
	ds_read_b128 a[4:7], v2 offset:64                          // 0000000052EC: DBFE0040 04000002
	v_mfma_f32_16x16x32_fp8_fp8 v[12:15], a[152:153], a[8:9], 0// 0000000052F4: D3F3000C 1A021198
	v_mfma_f32_16x16x32_fp8_fp8 v[12:15], a[154:155], a[10:11], v[12:15]// 0000000052FC: D3F3000C 1C32159A
	buffer_load_dwordx4 a[84:87], v36, s[84:87], 0 offen offset:1024// 000000005304: E05C1400 80955424
	v_mfma_f32_16x16x32_fp8_fp8 v[12:15], a[156:157], a[12:13], v[12:15]// 00000000530C: D3F3000C 1C32199C
	v_mfma_f32_16x16x32_fp8_fp8 v[12:15], a[158:159], a[14:15], v[12:15]// 000000005314: D3F3000C 1C321D9E
	v_fma_f32 v76, v8, v4, v76                                 // 00000000531C: D1CB004C 05320908
	v_fma_f32 v77, v9, v4, v77                                 // 000000005324: D1CB004D 05360909
	v_fma_f32 v78, v10, v4, v78                                // 00000000532C: D1CB004E 053A090A
	v_fma_f32 v79, v11, v4, v79                                // 000000005334: D1CB004F 053E090B
	v_mul_f32_dpp v6, v29, v33 row_newbcast:1 row_mask:0xf bank_mask:0xf// 00000000533C: 0A0C42FA FF01511D
	v_mfma_f32_16x16x32_fp8_fp8 v[8:11], a[160:161], a[8:9], 0 // 000000005344: D3F30008 1A0211A0
	v_mfma_f32_16x16x32_fp8_fp8 v[8:11], a[162:163], a[10:11], v[8:11]// 00000000534C: D3F30008 1C2215A2
	buffer_load_dwordx4 a[88:91], v37, s[84:87], 0 offen       // 000000005354: E05C1000 80955825
	v_mfma_f32_16x16x32_fp8_fp8 v[8:11], a[164:165], a[12:13], v[8:11]// 00000000535C: D3F30008 1C2219A4
	v_mfma_f32_16x16x32_fp8_fp8 v[8:11], a[166:167], a[14:15], v[8:11]// 000000005364: D3F30008 1C221DA6
	v_fma_f32 v80, v12, v4, v80                                // 00000000536C: D1CB0050 0542090C
	v_fma_f32 v81, v13, v4, v81                                // 000000005374: D1CB0051 0546090D
	v_fma_f32 v82, v14, v4, v82                                // 00000000537C: D1CB0052 054A090E
	v_fma_f32 v83, v15, v4, v83                                // 000000005384: D1CB0053 054E090F
	v_mfma_f32_16x16x32_fp8_fp8 v[12:15], a[168:169], a[8:9], 0// 00000000538C: D3F3000C 1A0211A8
	v_mfma_f32_16x16x32_fp8_fp8 v[12:15], a[170:171], a[10:11], v[12:15]// 000000005394: D3F3000C 1C3215AA
	buffer_load_dwordx4 a[92:95], v37, s[84:87], 0 offen offset:1024// 00000000539C: E05C1400 80955C25
	v_mfma_f32_16x16x32_fp8_fp8 v[12:15], a[172:173], a[12:13], v[12:15]// 0000000053A4: D3F3000C 1C3219AC
	v_mfma_f32_16x16x32_fp8_fp8 v[12:15], a[174:175], a[14:15], v[12:15]// 0000000053AC: D3F3000C 1C321DAE
	v_fma_f32 v84, v8, v6, v84                                 // 0000000053B4: D1CB0054 05520D08
	v_fma_f32 v85, v9, v6, v85                                 // 0000000053BC: D1CB0055 05560D09
	v_fma_f32 v86, v10, v6, v86                                // 0000000053C4: D1CB0056 055A0D0A
	v_fma_f32 v87, v11, v6, v87                                // 0000000053CC: D1CB0057 055E0D0B
	v_mul_f32_dpp v4, v29, v33 row_newbcast:2 row_mask:0xf bank_mask:0xf// 0000000053D4: 0A0842FA FF01521D
	v_mfma_f32_16x16x32_fp8_fp8 v[8:11], a[176:177], a[8:9], 0 // 0000000053DC: D3F30008 1A0211B0
	v_mfma_f32_16x16x32_fp8_fp8 v[8:11], a[178:179], a[10:11], v[8:11]// 0000000053E4: D3F30008 1C2215B2
	buffer_load_dwordx4 a[96:99], v38, s[84:87], 0 offen       // 0000000053EC: E05C1000 80956026
	v_mfma_f32_16x16x32_fp8_fp8 v[8:11], a[180:181], a[12:13], v[8:11]// 0000000053F4: D3F30008 1C2219B4
	v_mfma_f32_16x16x32_fp8_fp8 v[8:11], a[182:183], a[14:15], v[8:11]// 0000000053FC: D3F30008 1C221DB6
	v_fma_f32 v88, v12, v6, v88                                // 000000005404: D1CB0058 05620D0C
	v_fma_f32 v89, v13, v6, v89                                // 00000000540C: D1CB0059 05660D0D
	v_fma_f32 v90, v14, v6, v90                                // 000000005414: D1CB005A 056A0D0E
	v_fma_f32 v91, v15, v6, v91                                // 00000000541C: D1CB005B 056E0D0F
	v_mfma_f32_16x16x32_fp8_fp8 v[12:15], a[184:185], a[8:9], 0// 000000005424: D3F3000C 1A0211B8
	v_mfma_f32_16x16x32_fp8_fp8 v[12:15], a[186:187], a[10:11], v[12:15]// 00000000542C: D3F3000C 1C3215BA
	buffer_load_dwordx4 a[100:103], v38, s[84:87], 0 offen offset:1024// 000000005434: E05C1400 80956426
	v_mfma_f32_16x16x32_fp8_fp8 v[12:15], a[188:189], a[12:13], v[12:15]// 00000000543C: D3F3000C 1C3219BC
	v_mfma_f32_16x16x32_fp8_fp8 v[12:15], a[190:191], a[14:15], v[12:15]// 000000005444: D3F3000C 1C321DBE
	v_fma_f32 v92, v8, v4, v92                                 // 00000000544C: D1CB005C 05720908
	v_fma_f32 v93, v9, v4, v93                                 // 000000005454: D1CB005D 05760909
	v_fma_f32 v94, v10, v4, v94                                // 00000000545C: D1CB005E 057A090A
	v_fma_f32 v95, v11, v4, v95                                // 000000005464: D1CB005F 057E090B
	v_mul_f32_dpp v6, v29, v33 row_newbcast:3 row_mask:0xf bank_mask:0xf// 00000000546C: 0A0C42FA FF01531D
	v_mfma_f32_16x16x32_fp8_fp8 v[8:11], a[192:193], a[8:9], 0 // 000000005474: D3F30008 1A0211C0
	s_add_u32 s60, 0x180, s80                                  // 00000000547C: 803C50FF 00000180
	s_cmp_lt_u32 s60, s81                                      // 000000005484: BF0A513C
	s_cselect_b32 s57, s57, 0                                  // 000000005488: 85398039
	s_cselect_b32 s3, s3, 0                                    // 00000000548C: 85038003
	v_mfma_f32_16x16x32_fp8_fp8 v[8:11], a[194:195], a[10:11], v[8:11]// 000000005490: D3F30008 1C2215C2
	buffer_load_dwordx4 a[104:107], v39, s[84:87], 0 offen     // 000000005498: E05C1000 80956827
	s_add_u32 s60, 0x100, s80                                  // 0000000054A0: 803C50FF 00000100
	s_cmp_lt_u32 s60, s81                                      // 0000000054A8: BF0A513C
	s_cselect_b32 s58, s58, 0                                  // 0000000054AC: 853A803A
	v_mfma_f32_16x16x32_fp8_fp8 v[8:11], a[196:197], a[12:13], v[8:11]// 0000000054B0: D3F30008 1C2219C4
	s_add_u32 s60, 0x100, s80                                  // 0000000054B8: 803C50FF 00000100
	s_cmp_lt_u32 s60, s81                                      // 0000000054C0: BF0A513C
	s_cselect_b32 s83, s83, 0                                  // 0000000054C4: 85538053
	s_cselect_b32 s4, s4, 0                                    // 0000000054C8: 85048004
	v_mfma_f32_16x16x32_fp8_fp8 v[8:11], a[198:199], a[14:15], v[8:11]// 0000000054CC: D3F30008 1C221DC6
	s_add_u32 s24, s58, s24                                    // 0000000054D4: 8018183A
	s_addc_u32 s25, 0, s25                                     // 0000000054D8: 82191980
	v_fma_f32 v96, v12, v4, v96                                // 0000000054DC: D1CB0060 0582090C
	v_fma_f32 v97, v13, v4, v97                                // 0000000054E4: D1CB0061 0586090D
	v_fma_f32 v98, v14, v4, v98                                // 0000000054EC: D1CB0062 058A090E
	v_fma_f32 v99, v15, v4, v99                                // 0000000054F4: D1CB0063 058E090F
	v_mfma_f32_16x16x32_fp8_fp8 v[12:15], a[200:201], a[8:9], 0// 0000000054FC: D3F3000C 1A0211C8
	s_add_u32 s20, s57, s20                                    // 000000005504: 80141439
	s_addc_u32 s21, 0, s21                                     // 000000005508: 82151580
	s_add_u32 s28, s3, s28                                     // 00000000550C: 801C1C03
	s_addc_u32 s29, 0, s29                                     // 000000005510: 821D1D80
	v_mfma_f32_16x16x32_fp8_fp8 v[12:15], a[202:203], a[10:11], v[12:15]// 000000005514: D3F3000C 1C3215CA
	buffer_load_dwordx4 a[108:111], v39, s[84:87], 0 offen offset:1024// 00000000551C: E05C1400 80956C27
	v_mfma_f32_16x16x32_fp8_fp8 v[12:15], a[204:205], a[12:13], v[12:15]// 000000005524: D3F3000C 1C3219CC
	s_add_u32 s32, s4, s32                                     // 00000000552C: 80202004
	s_addc_u32 s33, 0, s33                                     // 000000005530: 82212180
	v_mfma_f32_16x16x32_fp8_fp8 v[12:15], a[206:207], a[14:15], v[12:15]// 000000005534: D3F3000C 1C321DCE
	v_fma_f32 v100, v8, v6, v100                               // 00000000553C: D1CB0064 05920D08
	v_fma_f32 v101, v9, v6, v101                               // 000000005544: D1CB0065 05960D09
	v_fma_f32 v102, v10, v6, v102                              // 00000000554C: D1CB0066 059A0D0A
	v_fma_f32 v103, v11, v6, v103                              // 000000005554: D1CB0067 059E0D0B
	v_fma_f32 v104, v12, v6, v104                              // 00000000555C: D1CB0068 05A20D0C
	v_fma_f32 v105, v13, v6, v105                              // 000000005564: D1CB0069 05A60D0D
	v_fma_f32 v106, v14, v6, v106                              // 00000000556C: D1CB006A 05AA0D0E
	v_fma_f32 v107, v15, v6, v107                              // 000000005574: D1CB006B 05AE0D0F
	buffer_load_dwordx4 a[112:115], v40, s[84:87], 0 offen     // 00000000557C: E05C1000 80957028
	buffer_load_dwordx4 a[116:119], v40, s[84:87], 0 offen offset:1024// 000000005584: E05C1400 80957428
	buffer_load_dwordx4 a[120:123], v41, s[84:87], 0 offen     // 00000000558C: E05C1000 80957829
	buffer_load_dwordx4 a[124:127], v41, s[84:87], 0 offen offset:1024// 000000005594: E05C1400 80957C29
	buffer_load_dwordx4 a[128:131], v42, s[84:87], 0 offen     // 00000000559C: E05C1000 8095802A
	buffer_load_dwordx4 a[132:135], v42, s[84:87], 0 offen offset:1024// 0000000055A4: E05C1400 8095842A
	buffer_load_dwordx4 a[136:139], v43, s[84:87], 0 offen     // 0000000055AC: E05C1000 8095882B
	buffer_load_dwordx4 a[140:143], v43, s[84:87], 0 offen offset:1024// 0000000055B4: E05C1400 80958C2B
	s_add_u32 s84, s83, s84                                    // 0000000055BC: 80545453
	s_addc_u32 s85, 0, s85                                     // 0000000055C0: 82555580
	s_addk_i32 s80, 0x80                                       // 0000000055C4: B7500080
	s_cmp_lt_i32 s80, s81                                      // 0000000055C8: BF045150
	s_cbranch_scc0 label_0AF5                                  // 0000000055CC: BF840001
	s_branch label_01FA                                        // 0000000055D0: BF82F705

00000000000055d4 <label_0AF5>:
	s_cmp_eq_u32 s88, 0                                        // 0000000055D4: BF068058
	s_cbranch_scc0 label_0F6E                                  // 0000000055D8: BF840477
	s_cmp_eq_u32 s89, 0                                        // 0000000055DC: BF068059
	s_cbranch_scc1 label_0C3E                                  // 0000000055E0: BF850145
	v_mov_b32_e32 v8, v1                                       // 0000000055E4: 7E100301
	v_mov_b32_e32 v9, v1                                       // 0000000055E8: 7E120301
	s_mov_b32 s60, s6                                          // 0000000055EC: BEBC0006
	s_mov_b32 s61, s6                                          // 0000000055F0: BEBD0006
	v_pk_mul_f32 v[4:5], v[44:45], v[44:45]                    // 0000000055F4: D3B14004 1802592C
	v_pk_mul_f32 v[6:7], v[46:47], v[46:47]                    // 0000000055FC: D3B14006 18025D2E
	v_pk_fma_f32 v[4:5], v[4:5], s[78:79], v[8:9]              // 000000005604: D3B04004 1C209D04
	v_pk_fma_f32 v[6:7], v[6:7], s[78:79], v[8:9]              // 00000000560C: D3B04006 1C209D06
	v_pk_mul_f32 v[4:5], v[4:5], v[44:45]                      // 000000005614: D3B14004 18025904
	v_pk_mul_f32 v[6:7], v[6:7], v[46:47]                      // 00000000561C: D3B14006 18025D06
	v_pk_mul_f32 v[4:5], v[4:5], s[60:61]                      // 000000005624: D3B14004 18007904
	v_pk_mul_f32 v[6:7], v[6:7], s[60:61]                      // 00000000562C: D3B14006 18007906
	v_exp_f32_e32 v4, v4                                       // 000000005634: 7E084104
	v_exp_f32_e32 v5, v5                                       // 000000005638: 7E0A4105
	v_exp_f32_e32 v6, v6                                       // 00000000563C: 7E0C4106
	v_exp_f32_e32 v7, v7                                       // 000000005640: 7E0E4107
	v_add_f32_e64 v4, v4, 1.0                                  // 000000005644: D1010004 0001E504
	v_add_f32_e64 v5, v5, 1.0                                  // 00000000564C: D1010005 0001E505
	v_add_f32_e64 v6, v6, 1.0                                  // 000000005654: D1010006 0001E506
	v_add_f32_e64 v7, v7, 1.0                                  // 00000000565C: D1010007 0001E507
	v_rcp_f32_e32 v4, v4                                       // 000000005664: 7E084504
	v_rcp_f32_e32 v5, v5                                       // 000000005668: 7E0A4505
	v_rcp_f32_e32 v6, v6                                       // 00000000566C: 7E0C4506
	v_rcp_f32_e32 v7, v7                                       // 000000005670: 7E0E4507
	v_mul_f32_e32 v44, v44, v4                                 // 000000005674: 0A58092C
	v_mul_f32_e32 v45, v45, v5                                 // 000000005678: 0A5A0B2D
	v_mul_f32_e32 v46, v46, v6                                 // 00000000567C: 0A5C0D2E
	v_mul_f32_e32 v47, v47, v7                                 // 000000005680: 0A5E0F2F
	v_mul_f32_e32 v44, v44, v76                                // 000000005684: 0A58992C
	v_mul_f32_e32 v45, v45, v77                                // 000000005688: 0A5A9B2D
	v_mul_f32_e32 v46, v46, v78                                // 00000000568C: 0A5C9D2E
	v_mul_f32_e32 v47, v47, v79                                // 000000005690: 0A5E9F2F
	v_pk_mul_f32 v[4:5], v[48:49], v[48:49]                    // 000000005694: D3B14004 18026130
	v_pk_mul_f32 v[6:7], v[50:51], v[50:51]                    // 00000000569C: D3B14006 18026532
	v_pk_fma_f32 v[4:5], v[4:5], s[78:79], v[8:9]              // 0000000056A4: D3B04004 1C209D04
	v_pk_fma_f32 v[6:7], v[6:7], s[78:79], v[8:9]              // 0000000056AC: D3B04006 1C209D06
	v_pk_mul_f32 v[4:5], v[4:5], v[48:49]                      // 0000000056B4: D3B14004 18026104
	v_pk_mul_f32 v[6:7], v[6:7], v[50:51]                      // 0000000056BC: D3B14006 18026506
	v_pk_mul_f32 v[4:5], v[4:5], s[60:61]                      // 0000000056C4: D3B14004 18007904
	v_pk_mul_f32 v[6:7], v[6:7], s[60:61]                      // 0000000056CC: D3B14006 18007906
	v_exp_f32_e32 v4, v4                                       // 0000000056D4: 7E084104
	v_exp_f32_e32 v5, v5                                       // 0000000056D8: 7E0A4105
	v_exp_f32_e32 v6, v6                                       // 0000000056DC: 7E0C4106
	v_exp_f32_e32 v7, v7                                       // 0000000056E0: 7E0E4107
	v_add_f32_e64 v4, v4, 1.0                                  // 0000000056E4: D1010004 0001E504
	v_add_f32_e64 v5, v5, 1.0                                  // 0000000056EC: D1010005 0001E505
	v_add_f32_e64 v6, v6, 1.0                                  // 0000000056F4: D1010006 0001E506
	v_add_f32_e64 v7, v7, 1.0                                  // 0000000056FC: D1010007 0001E507
	v_rcp_f32_e32 v4, v4                                       // 000000005704: 7E084504
	v_rcp_f32_e32 v5, v5                                       // 000000005708: 7E0A4505
	v_rcp_f32_e32 v6, v6                                       // 00000000570C: 7E0C4506
	v_rcp_f32_e32 v7, v7                                       // 000000005710: 7E0E4507
	v_mul_f32_e32 v48, v48, v4                                 // 000000005714: 0A600930
	v_mul_f32_e32 v49, v49, v5                                 // 000000005718: 0A620B31
	v_mul_f32_e32 v50, v50, v6                                 // 00000000571C: 0A640D32
	v_mul_f32_e32 v51, v51, v7                                 // 000000005720: 0A660F33
	v_mul_f32_e32 v48, v48, v80                                // 000000005724: 0A60A130
	v_mul_f32_e32 v49, v49, v81                                // 000000005728: 0A62A331
	v_mul_f32_e32 v50, v50, v82                                // 00000000572C: 0A64A532
	v_mul_f32_e32 v51, v51, v83                                // 000000005730: 0A66A733
	v_pk_mul_f32 v[4:5], v[52:53], v[52:53]                    // 000000005734: D3B14004 18026934
	v_pk_mul_f32 v[6:7], v[54:55], v[54:55]                    // 00000000573C: D3B14006 18026D36
	v_pk_fma_f32 v[4:5], v[4:5], s[78:79], v[8:9]              // 000000005744: D3B04004 1C209D04
	v_pk_fma_f32 v[6:7], v[6:7], s[78:79], v[8:9]              // 00000000574C: D3B04006 1C209D06
	v_pk_mul_f32 v[4:5], v[4:5], v[52:53]                      // 000000005754: D3B14004 18026904
	v_pk_mul_f32 v[6:7], v[6:7], v[54:55]                      // 00000000575C: D3B14006 18026D06
	v_pk_mul_f32 v[4:5], v[4:5], s[60:61]                      // 000000005764: D3B14004 18007904
	v_pk_mul_f32 v[6:7], v[6:7], s[60:61]                      // 00000000576C: D3B14006 18007906
	v_exp_f32_e32 v4, v4                                       // 000000005774: 7E084104
	v_exp_f32_e32 v5, v5                                       // 000000005778: 7E0A4105
	v_exp_f32_e32 v6, v6                                       // 00000000577C: 7E0C4106
	v_exp_f32_e32 v7, v7                                       // 000000005780: 7E0E4107
	v_add_f32_e64 v4, v4, 1.0                                  // 000000005784: D1010004 0001E504
	v_add_f32_e64 v5, v5, 1.0                                  // 00000000578C: D1010005 0001E505
	v_add_f32_e64 v6, v6, 1.0                                  // 000000005794: D1010006 0001E506
	v_add_f32_e64 v7, v7, 1.0                                  // 00000000579C: D1010007 0001E507
	v_rcp_f32_e32 v4, v4                                       // 0000000057A4: 7E084504
	v_rcp_f32_e32 v5, v5                                       // 0000000057A8: 7E0A4505
	v_rcp_f32_e32 v6, v6                                       // 0000000057AC: 7E0C4506
	v_rcp_f32_e32 v7, v7                                       // 0000000057B0: 7E0E4507
	v_mul_f32_e32 v52, v52, v4                                 // 0000000057B4: 0A680934
	v_mul_f32_e32 v53, v53, v5                                 // 0000000057B8: 0A6A0B35
	v_mul_f32_e32 v54, v54, v6                                 // 0000000057BC: 0A6C0D36
	v_mul_f32_e32 v55, v55, v7                                 // 0000000057C0: 0A6E0F37
	v_mul_f32_e32 v52, v52, v84                                // 0000000057C4: 0A68A934
	v_mul_f32_e32 v53, v53, v85                                // 0000000057C8: 0A6AAB35
	v_mul_f32_e32 v54, v54, v86                                // 0000000057CC: 0A6CAD36
	v_mul_f32_e32 v55, v55, v87                                // 0000000057D0: 0A6EAF37
	v_pk_mul_f32 v[4:5], v[56:57], v[56:57]                    // 0000000057D4: D3B14004 18027138
	v_pk_mul_f32 v[6:7], v[58:59], v[58:59]                    // 0000000057DC: D3B14006 1802753A
	v_pk_fma_f32 v[4:5], v[4:5], s[78:79], v[8:9]              // 0000000057E4: D3B04004 1C209D04
	v_pk_fma_f32 v[6:7], v[6:7], s[78:79], v[8:9]              // 0000000057EC: D3B04006 1C209D06
	v_pk_mul_f32 v[4:5], v[4:5], v[56:57]                      // 0000000057F4: D3B14004 18027104
	v_pk_mul_f32 v[6:7], v[6:7], v[58:59]                      // 0000000057FC: D3B14006 18027506
	v_pk_mul_f32 v[4:5], v[4:5], s[60:61]                      // 000000005804: D3B14004 18007904
	v_pk_mul_f32 v[6:7], v[6:7], s[60:61]                      // 00000000580C: D3B14006 18007906
	v_exp_f32_e32 v4, v4                                       // 000000005814: 7E084104
	v_exp_f32_e32 v5, v5                                       // 000000005818: 7E0A4105
	v_exp_f32_e32 v6, v6                                       // 00000000581C: 7E0C4106
	v_exp_f32_e32 v7, v7                                       // 000000005820: 7E0E4107
	v_add_f32_e64 v4, v4, 1.0                                  // 000000005824: D1010004 0001E504
	v_add_f32_e64 v5, v5, 1.0                                  // 00000000582C: D1010005 0001E505
	v_add_f32_e64 v6, v6, 1.0                                  // 000000005834: D1010006 0001E506
	v_add_f32_e64 v7, v7, 1.0                                  // 00000000583C: D1010007 0001E507
	v_rcp_f32_e32 v4, v4                                       // 000000005844: 7E084504
	v_rcp_f32_e32 v5, v5                                       // 000000005848: 7E0A4505
	v_rcp_f32_e32 v6, v6                                       // 00000000584C: 7E0C4506
	v_rcp_f32_e32 v7, v7                                       // 000000005850: 7E0E4507
	v_mul_f32_e32 v56, v56, v4                                 // 000000005854: 0A700938
	v_mul_f32_e32 v57, v57, v5                                 // 000000005858: 0A720B39
	v_mul_f32_e32 v58, v58, v6                                 // 00000000585C: 0A740D3A
	v_mul_f32_e32 v59, v59, v7                                 // 000000005860: 0A760F3B
	v_mul_f32_e32 v56, v56, v88                                // 000000005864: 0A70B138
	v_mul_f32_e32 v57, v57, v89                                // 000000005868: 0A72B339
	v_mul_f32_e32 v58, v58, v90                                // 00000000586C: 0A74B53A
	v_mul_f32_e32 v59, v59, v91                                // 000000005870: 0A76B73B
	v_pk_mul_f32 v[4:5], v[60:61], v[60:61]                    // 000000005874: D3B14004 1802793C
	v_pk_mul_f32 v[6:7], v[62:63], v[62:63]                    // 00000000587C: D3B14006 18027D3E
	v_pk_fma_f32 v[4:5], v[4:5], s[78:79], v[8:9]              // 000000005884: D3B04004 1C209D04
	v_pk_fma_f32 v[6:7], v[6:7], s[78:79], v[8:9]              // 00000000588C: D3B04006 1C209D06
	v_pk_mul_f32 v[4:5], v[4:5], v[60:61]                      // 000000005894: D3B14004 18027904
	v_pk_mul_f32 v[6:7], v[6:7], v[62:63]                      // 00000000589C: D3B14006 18027D06
	v_pk_mul_f32 v[4:5], v[4:5], s[60:61]                      // 0000000058A4: D3B14004 18007904
	v_pk_mul_f32 v[6:7], v[6:7], s[60:61]                      // 0000000058AC: D3B14006 18007906
	v_exp_f32_e32 v4, v4                                       // 0000000058B4: 7E084104
	v_exp_f32_e32 v5, v5                                       // 0000000058B8: 7E0A4105
	v_exp_f32_e32 v6, v6                                       // 0000000058BC: 7E0C4106
	v_exp_f32_e32 v7, v7                                       // 0000000058C0: 7E0E4107
	v_add_f32_e64 v4, v4, 1.0                                  // 0000000058C4: D1010004 0001E504
	v_add_f32_e64 v5, v5, 1.0                                  // 0000000058CC: D1010005 0001E505
	v_add_f32_e64 v6, v6, 1.0                                  // 0000000058D4: D1010006 0001E506
	v_add_f32_e64 v7, v7, 1.0                                  // 0000000058DC: D1010007 0001E507
	v_rcp_f32_e32 v4, v4                                       // 0000000058E4: 7E084504
	v_rcp_f32_e32 v5, v5                                       // 0000000058E8: 7E0A4505
	v_rcp_f32_e32 v6, v6                                       // 0000000058EC: 7E0C4506
	v_rcp_f32_e32 v7, v7                                       // 0000000058F0: 7E0E4507
	v_mul_f32_e32 v60, v60, v4                                 // 0000000058F4: 0A78093C
	v_mul_f32_e32 v61, v61, v5                                 // 0000000058F8: 0A7A0B3D
	v_mul_f32_e32 v62, v62, v6                                 // 0000000058FC: 0A7C0D3E
	v_mul_f32_e32 v63, v63, v7                                 // 000000005900: 0A7E0F3F
	v_mul_f32_e32 v60, v60, v92                                // 000000005904: 0A78B93C
	v_mul_f32_e32 v61, v61, v93                                // 000000005908: 0A7ABB3D
	v_mul_f32_e32 v62, v62, v94                                // 00000000590C: 0A7CBD3E
	v_mul_f32_e32 v63, v63, v95                                // 000000005910: 0A7EBF3F
	v_pk_mul_f32 v[4:5], v[64:65], v[64:65]                    // 000000005914: D3B14004 18028140
	v_pk_mul_f32 v[6:7], v[66:67], v[66:67]                    // 00000000591C: D3B14006 18028542
	v_pk_fma_f32 v[4:5], v[4:5], s[78:79], v[8:9]              // 000000005924: D3B04004 1C209D04
	v_pk_fma_f32 v[6:7], v[6:7], s[78:79], v[8:9]              // 00000000592C: D3B04006 1C209D06
	v_pk_mul_f32 v[4:5], v[4:5], v[64:65]                      // 000000005934: D3B14004 18028104
	v_pk_mul_f32 v[6:7], v[6:7], v[66:67]                      // 00000000593C: D3B14006 18028506
	v_pk_mul_f32 v[4:5], v[4:5], s[60:61]                      // 000000005944: D3B14004 18007904
	v_pk_mul_f32 v[6:7], v[6:7], s[60:61]                      // 00000000594C: D3B14006 18007906
	v_exp_f32_e32 v4, v4                                       // 000000005954: 7E084104
	v_exp_f32_e32 v5, v5                                       // 000000005958: 7E0A4105
	v_exp_f32_e32 v6, v6                                       // 00000000595C: 7E0C4106
	v_exp_f32_e32 v7, v7                                       // 000000005960: 7E0E4107
	v_add_f32_e64 v4, v4, 1.0                                  // 000000005964: D1010004 0001E504
	v_add_f32_e64 v5, v5, 1.0                                  // 00000000596C: D1010005 0001E505
	v_add_f32_e64 v6, v6, 1.0                                  // 000000005974: D1010006 0001E506
	v_add_f32_e64 v7, v7, 1.0                                  // 00000000597C: D1010007 0001E507
	v_rcp_f32_e32 v4, v4                                       // 000000005984: 7E084504
	v_rcp_f32_e32 v5, v5                                       // 000000005988: 7E0A4505
	v_rcp_f32_e32 v6, v6                                       // 00000000598C: 7E0C4506
	v_rcp_f32_e32 v7, v7                                       // 000000005990: 7E0E4507
	v_mul_f32_e32 v64, v64, v4                                 // 000000005994: 0A800940
	v_mul_f32_e32 v65, v65, v5                                 // 000000005998: 0A820B41
	v_mul_f32_e32 v66, v66, v6                                 // 00000000599C: 0A840D42
	v_mul_f32_e32 v67, v67, v7                                 // 0000000059A0: 0A860F43
	v_mul_f32_e32 v64, v64, v96                                // 0000000059A4: 0A80C140
	v_mul_f32_e32 v65, v65, v97                                // 0000000059A8: 0A82C341
	v_mul_f32_e32 v66, v66, v98                                // 0000000059AC: 0A84C542
	v_mul_f32_e32 v67, v67, v99                                // 0000000059B0: 0A86C743
	v_pk_mul_f32 v[4:5], v[68:69], v[68:69]                    // 0000000059B4: D3B14004 18028944
	v_pk_mul_f32 v[6:7], v[70:71], v[70:71]                    // 0000000059BC: D3B14006 18028D46
	v_pk_fma_f32 v[4:5], v[4:5], s[78:79], v[8:9]              // 0000000059C4: D3B04004 1C209D04
	v_pk_fma_f32 v[6:7], v[6:7], s[78:79], v[8:9]              // 0000000059CC: D3B04006 1C209D06
	v_pk_mul_f32 v[4:5], v[4:5], v[68:69]                      // 0000000059D4: D3B14004 18028904
	v_pk_mul_f32 v[6:7], v[6:7], v[70:71]                      // 0000000059DC: D3B14006 18028D06
	v_pk_mul_f32 v[4:5], v[4:5], s[60:61]                      // 0000000059E4: D3B14004 18007904
	v_pk_mul_f32 v[6:7], v[6:7], s[60:61]                      // 0000000059EC: D3B14006 18007906
	v_exp_f32_e32 v4, v4                                       // 0000000059F4: 7E084104
	v_exp_f32_e32 v5, v5                                       // 0000000059F8: 7E0A4105
	v_exp_f32_e32 v6, v6                                       // 0000000059FC: 7E0C4106
	v_exp_f32_e32 v7, v7                                       // 000000005A00: 7E0E4107
	v_add_f32_e64 v4, v4, 1.0                                  // 000000005A04: D1010004 0001E504
	v_add_f32_e64 v5, v5, 1.0                                  // 000000005A0C: D1010005 0001E505
	v_add_f32_e64 v6, v6, 1.0                                  // 000000005A14: D1010006 0001E506
	v_add_f32_e64 v7, v7, 1.0                                  // 000000005A1C: D1010007 0001E507
	v_rcp_f32_e32 v4, v4                                       // 000000005A24: 7E084504
	v_rcp_f32_e32 v5, v5                                       // 000000005A28: 7E0A4505
	v_rcp_f32_e32 v6, v6                                       // 000000005A2C: 7E0C4506
	v_rcp_f32_e32 v7, v7                                       // 000000005A30: 7E0E4507
	v_mul_f32_e32 v68, v68, v4                                 // 000000005A34: 0A880944
	v_mul_f32_e32 v69, v69, v5                                 // 000000005A38: 0A8A0B45
	v_mul_f32_e32 v70, v70, v6                                 // 000000005A3C: 0A8C0D46
	v_mul_f32_e32 v71, v71, v7                                 // 000000005A40: 0A8E0F47
	v_mul_f32_e32 v68, v68, v100                               // 000000005A44: 0A88C944
	v_mul_f32_e32 v69, v69, v101                               // 000000005A48: 0A8ACB45
	v_mul_f32_e32 v70, v70, v102                               // 000000005A4C: 0A8CCD46
	v_mul_f32_e32 v71, v71, v103                               // 000000005A50: 0A8ECF47
	v_pk_mul_f32 v[4:5], v[72:73], v[72:73]                    // 000000005A54: D3B14004 18029148
	v_pk_mul_f32 v[6:7], v[74:75], v[74:75]                    // 000000005A5C: D3B14006 1802954A
	v_pk_fma_f32 v[4:5], v[4:5], s[78:79], v[8:9]              // 000000005A64: D3B04004 1C209D04
	v_pk_fma_f32 v[6:7], v[6:7], s[78:79], v[8:9]              // 000000005A6C: D3B04006 1C209D06
	v_pk_mul_f32 v[4:5], v[4:5], v[72:73]                      // 000000005A74: D3B14004 18029104
	v_pk_mul_f32 v[6:7], v[6:7], v[74:75]                      // 000000005A7C: D3B14006 18029506
	v_pk_mul_f32 v[4:5], v[4:5], s[60:61]                      // 000000005A84: D3B14004 18007904
	v_pk_mul_f32 v[6:7], v[6:7], s[60:61]                      // 000000005A8C: D3B14006 18007906
	v_exp_f32_e32 v4, v4                                       // 000000005A94: 7E084104
	v_exp_f32_e32 v5, v5                                       // 000000005A98: 7E0A4105
	v_exp_f32_e32 v6, v6                                       // 000000005A9C: 7E0C4106
	v_exp_f32_e32 v7, v7                                       // 000000005AA0: 7E0E4107
	v_add_f32_e64 v4, v4, 1.0                                  // 000000005AA4: D1010004 0001E504
	v_add_f32_e64 v5, v5, 1.0                                  // 000000005AAC: D1010005 0001E505
	v_add_f32_e64 v6, v6, 1.0                                  // 000000005AB4: D1010006 0001E506
	v_add_f32_e64 v7, v7, 1.0                                  // 000000005ABC: D1010007 0001E507
	v_rcp_f32_e32 v4, v4                                       // 000000005AC4: 7E084504
	v_rcp_f32_e32 v5, v5                                       // 000000005AC8: 7E0A4505
	v_rcp_f32_e32 v6, v6                                       // 000000005ACC: 7E0C4506
	v_rcp_f32_e32 v7, v7                                       // 000000005AD0: 7E0E4507
	v_mul_f32_e32 v72, v72, v4                                 // 000000005AD4: 0A900948
	v_mul_f32_e32 v73, v73, v5                                 // 000000005AD8: 0A920B49
	v_mul_f32_e32 v74, v74, v6                                 // 000000005ADC: 0A940D4A
	v_mul_f32_e32 v75, v75, v7                                 // 000000005AE0: 0A960F4B
	v_mul_f32_e32 v72, v72, v104                               // 000000005AE4: 0A90D148
	v_mul_f32_e32 v73, v73, v105                               // 000000005AE8: 0A92D349
	v_mul_f32_e32 v74, v74, v106                               // 000000005AEC: 0A94D54A
	v_mul_f32_e32 v75, v75, v107                               // 000000005AF0: 0A96D74B
	s_branch label_0D3E                                        // 000000005AF4: BF820100

0000000000005af8 <label_0C3E>:
	v_mul_f32_e64 v4, -v44, s6                                 // 000000005AF8: D1050004 20000D2C
	v_mul_f32_e64 v5, -v45, s6                                 // 000000005B00: D1050005 20000D2D
	v_mul_f32_e64 v6, -v46, s6                                 // 000000005B08: D1050006 20000D2E
	v_mul_f32_e64 v7, -v47, s6                                 // 000000005B10: D1050007 20000D2F
	v_exp_f32_e32 v4, v4                                       // 000000005B18: 7E084104
	v_exp_f32_e32 v5, v5                                       // 000000005B1C: 7E0A4105
	v_exp_f32_e32 v6, v6                                       // 000000005B20: 7E0C4106
	v_exp_f32_e32 v7, v7                                       // 000000005B24: 7E0E4107
	v_add_f32_e64 v4, v4, 1.0                                  // 000000005B28: D1010004 0001E504
	v_add_f32_e64 v5, v5, 1.0                                  // 000000005B30: D1010005 0001E505
	v_add_f32_e64 v6, v6, 1.0                                  // 000000005B38: D1010006 0001E506
	v_add_f32_e64 v7, v7, 1.0                                  // 000000005B40: D1010007 0001E507
	v_rcp_f32_e32 v4, v4                                       // 000000005B48: 7E084504
	v_rcp_f32_e32 v5, v5                                       // 000000005B4C: 7E0A4505
	v_rcp_f32_e32 v6, v6                                       // 000000005B50: 7E0C4506
	v_rcp_f32_e32 v7, v7                                       // 000000005B54: 7E0E4507
	v_mul_f32_e32 v44, v44, v4                                 // 000000005B58: 0A58092C
	v_mul_f32_e32 v45, v45, v5                                 // 000000005B5C: 0A5A0B2D
	v_mul_f32_e32 v46, v46, v6                                 // 000000005B60: 0A5C0D2E
	v_mul_f32_e32 v47, v47, v7                                 // 000000005B64: 0A5E0F2F
	v_mul_f32_e32 v44, v44, v76                                // 000000005B68: 0A58992C
	v_mul_f32_e32 v45, v45, v77                                // 000000005B6C: 0A5A9B2D
	v_mul_f32_e32 v46, v46, v78                                // 000000005B70: 0A5C9D2E
	v_mul_f32_e32 v47, v47, v79                                // 000000005B74: 0A5E9F2F
	v_mul_f32_e64 v4, -v48, s6                                 // 000000005B78: D1050004 20000D30
	v_mul_f32_e64 v5, -v49, s6                                 // 000000005B80: D1050005 20000D31
	v_mul_f32_e64 v6, -v50, s6                                 // 000000005B88: D1050006 20000D32
	v_mul_f32_e64 v7, -v51, s6                                 // 000000005B90: D1050007 20000D33
	v_exp_f32_e32 v4, v4                                       // 000000005B98: 7E084104
	v_exp_f32_e32 v5, v5                                       // 000000005B9C: 7E0A4105
	v_exp_f32_e32 v6, v6                                       // 000000005BA0: 7E0C4106
	v_exp_f32_e32 v7, v7                                       // 000000005BA4: 7E0E4107
	v_add_f32_e64 v4, v4, 1.0                                  // 000000005BA8: D1010004 0001E504
	v_add_f32_e64 v5, v5, 1.0                                  // 000000005BB0: D1010005 0001E505
	v_add_f32_e64 v6, v6, 1.0                                  // 000000005BB8: D1010006 0001E506
	v_add_f32_e64 v7, v7, 1.0                                  // 000000005BC0: D1010007 0001E507
	v_rcp_f32_e32 v4, v4                                       // 000000005BC8: 7E084504
	v_rcp_f32_e32 v5, v5                                       // 000000005BCC: 7E0A4505
	v_rcp_f32_e32 v6, v6                                       // 000000005BD0: 7E0C4506
	v_rcp_f32_e32 v7, v7                                       // 000000005BD4: 7E0E4507
	v_mul_f32_e32 v48, v48, v4                                 // 000000005BD8: 0A600930
	v_mul_f32_e32 v49, v49, v5                                 // 000000005BDC: 0A620B31
	v_mul_f32_e32 v50, v50, v6                                 // 000000005BE0: 0A640D32
	v_mul_f32_e32 v51, v51, v7                                 // 000000005BE4: 0A660F33
	v_mul_f32_e32 v48, v48, v80                                // 000000005BE8: 0A60A130
	v_mul_f32_e32 v49, v49, v81                                // 000000005BEC: 0A62A331
	v_mul_f32_e32 v50, v50, v82                                // 000000005BF0: 0A64A532
	v_mul_f32_e32 v51, v51, v83                                // 000000005BF4: 0A66A733
	v_mul_f32_e64 v4, -v52, s6                                 // 000000005BF8: D1050004 20000D34
	v_mul_f32_e64 v5, -v53, s6                                 // 000000005C00: D1050005 20000D35
	v_mul_f32_e64 v6, -v54, s6                                 // 000000005C08: D1050006 20000D36
	v_mul_f32_e64 v7, -v55, s6                                 // 000000005C10: D1050007 20000D37
	v_exp_f32_e32 v4, v4                                       // 000000005C18: 7E084104
	v_exp_f32_e32 v5, v5                                       // 000000005C1C: 7E0A4105
	v_exp_f32_e32 v6, v6                                       // 000000005C20: 7E0C4106
	v_exp_f32_e32 v7, v7                                       // 000000005C24: 7E0E4107
	v_add_f32_e64 v4, v4, 1.0                                  // 000000005C28: D1010004 0001E504
	v_add_f32_e64 v5, v5, 1.0                                  // 000000005C30: D1010005 0001E505
	v_add_f32_e64 v6, v6, 1.0                                  // 000000005C38: D1010006 0001E506
	v_add_f32_e64 v7, v7, 1.0                                  // 000000005C40: D1010007 0001E507
	v_rcp_f32_e32 v4, v4                                       // 000000005C48: 7E084504
	v_rcp_f32_e32 v5, v5                                       // 000000005C4C: 7E0A4505
	v_rcp_f32_e32 v6, v6                                       // 000000005C50: 7E0C4506
	v_rcp_f32_e32 v7, v7                                       // 000000005C54: 7E0E4507
	v_mul_f32_e32 v52, v52, v4                                 // 000000005C58: 0A680934
	v_mul_f32_e32 v53, v53, v5                                 // 000000005C5C: 0A6A0B35
	v_mul_f32_e32 v54, v54, v6                                 // 000000005C60: 0A6C0D36
	v_mul_f32_e32 v55, v55, v7                                 // 000000005C64: 0A6E0F37
	v_mul_f32_e32 v52, v52, v84                                // 000000005C68: 0A68A934
	v_mul_f32_e32 v53, v53, v85                                // 000000005C6C: 0A6AAB35
	v_mul_f32_e32 v54, v54, v86                                // 000000005C70: 0A6CAD36
	v_mul_f32_e32 v55, v55, v87                                // 000000005C74: 0A6EAF37
	v_mul_f32_e64 v4, -v56, s6                                 // 000000005C78: D1050004 20000D38
	v_mul_f32_e64 v5, -v57, s6                                 // 000000005C80: D1050005 20000D39
	v_mul_f32_e64 v6, -v58, s6                                 // 000000005C88: D1050006 20000D3A
	v_mul_f32_e64 v7, -v59, s6                                 // 000000005C90: D1050007 20000D3B
	v_exp_f32_e32 v4, v4                                       // 000000005C98: 7E084104
	v_exp_f32_e32 v5, v5                                       // 000000005C9C: 7E0A4105
	v_exp_f32_e32 v6, v6                                       // 000000005CA0: 7E0C4106
	v_exp_f32_e32 v7, v7                                       // 000000005CA4: 7E0E4107
	v_add_f32_e64 v4, v4, 1.0                                  // 000000005CA8: D1010004 0001E504
	v_add_f32_e64 v5, v5, 1.0                                  // 000000005CB0: D1010005 0001E505
	v_add_f32_e64 v6, v6, 1.0                                  // 000000005CB8: D1010006 0001E506
	v_add_f32_e64 v7, v7, 1.0                                  // 000000005CC0: D1010007 0001E507
	v_rcp_f32_e32 v4, v4                                       // 000000005CC8: 7E084504
	v_rcp_f32_e32 v5, v5                                       // 000000005CCC: 7E0A4505
	v_rcp_f32_e32 v6, v6                                       // 000000005CD0: 7E0C4506
	v_rcp_f32_e32 v7, v7                                       // 000000005CD4: 7E0E4507
	v_mul_f32_e32 v56, v56, v4                                 // 000000005CD8: 0A700938
	v_mul_f32_e32 v57, v57, v5                                 // 000000005CDC: 0A720B39
	v_mul_f32_e32 v58, v58, v6                                 // 000000005CE0: 0A740D3A
	v_mul_f32_e32 v59, v59, v7                                 // 000000005CE4: 0A760F3B
	v_mul_f32_e32 v56, v56, v88                                // 000000005CE8: 0A70B138
	v_mul_f32_e32 v57, v57, v89                                // 000000005CEC: 0A72B339
	v_mul_f32_e32 v58, v58, v90                                // 000000005CF0: 0A74B53A
	v_mul_f32_e32 v59, v59, v91                                // 000000005CF4: 0A76B73B
	v_mul_f32_e64 v4, -v60, s6                                 // 000000005CF8: D1050004 20000D3C
	v_mul_f32_e64 v5, -v61, s6                                 // 000000005D00: D1050005 20000D3D
	v_mul_f32_e64 v6, -v62, s6                                 // 000000005D08: D1050006 20000D3E
	v_mul_f32_e64 v7, -v63, s6                                 // 000000005D10: D1050007 20000D3F
	v_exp_f32_e32 v4, v4                                       // 000000005D18: 7E084104
	v_exp_f32_e32 v5, v5                                       // 000000005D1C: 7E0A4105
	v_exp_f32_e32 v6, v6                                       // 000000005D20: 7E0C4106
	v_exp_f32_e32 v7, v7                                       // 000000005D24: 7E0E4107
	v_add_f32_e64 v4, v4, 1.0                                  // 000000005D28: D1010004 0001E504
	v_add_f32_e64 v5, v5, 1.0                                  // 000000005D30: D1010005 0001E505
	v_add_f32_e64 v6, v6, 1.0                                  // 000000005D38: D1010006 0001E506
	v_add_f32_e64 v7, v7, 1.0                                  // 000000005D40: D1010007 0001E507
	v_rcp_f32_e32 v4, v4                                       // 000000005D48: 7E084504
	v_rcp_f32_e32 v5, v5                                       // 000000005D4C: 7E0A4505
	v_rcp_f32_e32 v6, v6                                       // 000000005D50: 7E0C4506
	v_rcp_f32_e32 v7, v7                                       // 000000005D54: 7E0E4507
	v_mul_f32_e32 v60, v60, v4                                 // 000000005D58: 0A78093C
	v_mul_f32_e32 v61, v61, v5                                 // 000000005D5C: 0A7A0B3D
	v_mul_f32_e32 v62, v62, v6                                 // 000000005D60: 0A7C0D3E
	v_mul_f32_e32 v63, v63, v7                                 // 000000005D64: 0A7E0F3F
	v_mul_f32_e32 v60, v60, v92                                // 000000005D68: 0A78B93C
	v_mul_f32_e32 v61, v61, v93                                // 000000005D6C: 0A7ABB3D
	v_mul_f32_e32 v62, v62, v94                                // 000000005D70: 0A7CBD3E
	v_mul_f32_e32 v63, v63, v95                                // 000000005D74: 0A7EBF3F
	v_mul_f32_e64 v4, -v64, s6                                 // 000000005D78: D1050004 20000D40
	v_mul_f32_e64 v5, -v65, s6                                 // 000000005D80: D1050005 20000D41
	v_mul_f32_e64 v6, -v66, s6                                 // 000000005D88: D1050006 20000D42
	v_mul_f32_e64 v7, -v67, s6                                 // 000000005D90: D1050007 20000D43
	v_exp_f32_e32 v4, v4                                       // 000000005D98: 7E084104
	v_exp_f32_e32 v5, v5                                       // 000000005D9C: 7E0A4105
	v_exp_f32_e32 v6, v6                                       // 000000005DA0: 7E0C4106
	v_exp_f32_e32 v7, v7                                       // 000000005DA4: 7E0E4107
	v_add_f32_e64 v4, v4, 1.0                                  // 000000005DA8: D1010004 0001E504
	v_add_f32_e64 v5, v5, 1.0                                  // 000000005DB0: D1010005 0001E505
	v_add_f32_e64 v6, v6, 1.0                                  // 000000005DB8: D1010006 0001E506
	v_add_f32_e64 v7, v7, 1.0                                  // 000000005DC0: D1010007 0001E507
	v_rcp_f32_e32 v4, v4                                       // 000000005DC8: 7E084504
	v_rcp_f32_e32 v5, v5                                       // 000000005DCC: 7E0A4505
	v_rcp_f32_e32 v6, v6                                       // 000000005DD0: 7E0C4506
	v_rcp_f32_e32 v7, v7                                       // 000000005DD4: 7E0E4507
	v_mul_f32_e32 v64, v64, v4                                 // 000000005DD8: 0A800940
	v_mul_f32_e32 v65, v65, v5                                 // 000000005DDC: 0A820B41
	v_mul_f32_e32 v66, v66, v6                                 // 000000005DE0: 0A840D42
	v_mul_f32_e32 v67, v67, v7                                 // 000000005DE4: 0A860F43
	v_mul_f32_e32 v64, v64, v96                                // 000000005DE8: 0A80C140
	v_mul_f32_e32 v65, v65, v97                                // 000000005DEC: 0A82C341
	v_mul_f32_e32 v66, v66, v98                                // 000000005DF0: 0A84C542
	v_mul_f32_e32 v67, v67, v99                                // 000000005DF4: 0A86C743
	v_mul_f32_e64 v4, -v68, s6                                 // 000000005DF8: D1050004 20000D44
	v_mul_f32_e64 v5, -v69, s6                                 // 000000005E00: D1050005 20000D45
	v_mul_f32_e64 v6, -v70, s6                                 // 000000005E08: D1050006 20000D46
	v_mul_f32_e64 v7, -v71, s6                                 // 000000005E10: D1050007 20000D47
	v_exp_f32_e32 v4, v4                                       // 000000005E18: 7E084104
	v_exp_f32_e32 v5, v5                                       // 000000005E1C: 7E0A4105
	v_exp_f32_e32 v6, v6                                       // 000000005E20: 7E0C4106
	v_exp_f32_e32 v7, v7                                       // 000000005E24: 7E0E4107
	v_add_f32_e64 v4, v4, 1.0                                  // 000000005E28: D1010004 0001E504
	v_add_f32_e64 v5, v5, 1.0                                  // 000000005E30: D1010005 0001E505
	v_add_f32_e64 v6, v6, 1.0                                  // 000000005E38: D1010006 0001E506
	v_add_f32_e64 v7, v7, 1.0                                  // 000000005E40: D1010007 0001E507
	v_rcp_f32_e32 v4, v4                                       // 000000005E48: 7E084504
	v_rcp_f32_e32 v5, v5                                       // 000000005E4C: 7E0A4505
	v_rcp_f32_e32 v6, v6                                       // 000000005E50: 7E0C4506
	v_rcp_f32_e32 v7, v7                                       // 000000005E54: 7E0E4507
	v_mul_f32_e32 v68, v68, v4                                 // 000000005E58: 0A880944
	v_mul_f32_e32 v69, v69, v5                                 // 000000005E5C: 0A8A0B45
	v_mul_f32_e32 v70, v70, v6                                 // 000000005E60: 0A8C0D46
	v_mul_f32_e32 v71, v71, v7                                 // 000000005E64: 0A8E0F47
	v_mul_f32_e32 v68, v68, v100                               // 000000005E68: 0A88C944
	v_mul_f32_e32 v69, v69, v101                               // 000000005E6C: 0A8ACB45
	v_mul_f32_e32 v70, v70, v102                               // 000000005E70: 0A8CCD46
	v_mul_f32_e32 v71, v71, v103                               // 000000005E74: 0A8ECF47
	v_mul_f32_e64 v4, -v72, s6                                 // 000000005E78: D1050004 20000D48
	v_mul_f32_e64 v5, -v73, s6                                 // 000000005E80: D1050005 20000D49
	v_mul_f32_e64 v6, -v74, s6                                 // 000000005E88: D1050006 20000D4A
	v_mul_f32_e64 v7, -v75, s6                                 // 000000005E90: D1050007 20000D4B
	v_exp_f32_e32 v4, v4                                       // 000000005E98: 7E084104
	v_exp_f32_e32 v5, v5                                       // 000000005E9C: 7E0A4105
	v_exp_f32_e32 v6, v6                                       // 000000005EA0: 7E0C4106
	v_exp_f32_e32 v7, v7                                       // 000000005EA4: 7E0E4107
	v_add_f32_e64 v4, v4, 1.0                                  // 000000005EA8: D1010004 0001E504
	v_add_f32_e64 v5, v5, 1.0                                  // 000000005EB0: D1010005 0001E505
	v_add_f32_e64 v6, v6, 1.0                                  // 000000005EB8: D1010006 0001E506
	v_add_f32_e64 v7, v7, 1.0                                  // 000000005EC0: D1010007 0001E507
	v_rcp_f32_e32 v4, v4                                       // 000000005EC8: 7E084504
	v_rcp_f32_e32 v5, v5                                       // 000000005ECC: 7E0A4505
	v_rcp_f32_e32 v6, v6                                       // 000000005ED0: 7E0C4506
	v_rcp_f32_e32 v7, v7                                       // 000000005ED4: 7E0E4507
	v_mul_f32_e32 v72, v72, v4                                 // 000000005ED8: 0A900948
	v_mul_f32_e32 v73, v73, v5                                 // 000000005EDC: 0A920B49
	v_mul_f32_e32 v74, v74, v6                                 // 000000005EE0: 0A940D4A
	v_mul_f32_e32 v75, v75, v7                                 // 000000005EE4: 0A960F4B
	v_mul_f32_e32 v72, v72, v104                               // 000000005EE8: 0A90D148
	v_mul_f32_e32 v73, v73, v105                               // 000000005EEC: 0A92D349
	v_mul_f32_e32 v74, v74, v106                               // 000000005EF0: 0A94D54A
	v_mul_f32_e32 v75, v75, v107                               // 000000005EF4: 0A96D74B

0000000000005ef8 <label_0D3E>:
	s_cmp_eq_u32 s7, 0                                         // 000000005EF8: BF068007
	s_cbranch_scc0 label_0D45                                  // 000000005EFC: BF840005
	v_and_b32_e32 v4, 15, v0                                   // 000000005F00: 2608008F
	v_lshlrev_b32_e32 v4, 2, v4                                // 000000005F04: 24080882
	buffer_load_dword v30, v4, s[12:15], 0 offen               // 000000005F08: E0501000 80031E04
	v_add_u32_e32 v4, 64, v4                                   // 000000005F10: 680808C0

0000000000005f14 <label_0D45>:
	v_lshlrev_b32_e32 v4, 2, v0                                // 000000005F14: 24080082
	s_mul_i32 s60, 0x100, s7                                   // 000000005F18: 923C07FF 00000100
	v_add_u32_e32 v80, s60, v4                                 // 000000005F20: 68A0083C
	v_and_b32_e32 v4, 15, v0                                   // 000000005F24: 2608008F
	v_lshlrev_b32_e32 v81, 2, v4                               // 000000005F28: 24A20882
	s_waitcnt lgkmcnt(0)                                       // 000000005F2C: BF8CC07F
	s_barrier                                                  // 000000005F30: BF8A0000
	v_mov_b32_e32 v76, 0x358637bd                              // 000000005F34: 7E9802FF 358637BD
	v_max3_f32 v76, |v44|, |v45|, v76                          // 000000005F3C: D1D3034C 05325B2C
	v_max3_f32 v76, |v46|, |v47|, v76                          // 000000005F44: D1D3034C 05325F2E
	v_max3_f32 v76, |v48|, |v49|, v76                          // 000000005F4C: D1D3034C 05326330
	v_max3_f32 v76, |v50|, |v51|, v76                          // 000000005F54: D1D3034C 05326732
	ds_write_b32 v80, v76                                      // 000000005F5C: D81A0000 00004C50
	s_waitcnt lgkmcnt(0)                                       // 000000005F64: BF8CC07F
	s_barrier                                                  // 000000005F68: BF8A0000
	ds_read_b32 v4, v81                                        // 000000005F6C: D86C0000 04000051
	ds_read_b32 v5, v81 offset:64                              // 000000005F74: D86C0040 05000051
	ds_read_b32 v6, v81 offset:128                             // 000000005F7C: D86C0080 06000051
	ds_read_b32 v7, v81 offset:192                             // 000000005F84: D86C00C0 07000051
	ds_read_b32 v8, v81 offset:256                             // 000000005F8C: D86C0100 08000051
	ds_read_b32 v9, v81 offset:320                             // 000000005F94: D86C0140 09000051
	ds_read_b32 v10, v81 offset:384                            // 000000005F9C: D86C0180 0A000051
	ds_read_b32 v11, v81 offset:448                            // 000000005FA4: D86C01C0 0B000051
	ds_read_b32 v12, v81 offset:512                            // 000000005FAC: D86C0200 0C000051
	ds_read_b32 v13, v81 offset:576                            // 000000005FB4: D86C0240 0D000051
	ds_read_b32 v14, v81 offset:640                            // 000000005FBC: D86C0280 0E000051
	ds_read_b32 v15, v81 offset:704                            // 000000005FC4: D86C02C0 0F000051
	ds_read_b32 v16, v81 offset:768                            // 000000005FCC: D86C0300 10000051
	ds_read_b32 v17, v81 offset:832                            // 000000005FD4: D86C0340 11000051
	ds_read_b32 v18, v81 offset:896                            // 000000005FDC: D86C0380 12000051
	ds_read_b32 v19, v81 offset:960                            // 000000005FE4: D86C03C0 13000051
	s_waitcnt lgkmcnt(0)                                       // 000000005FEC: BF8CC07F
	s_barrier                                                  // 000000005FF0: BF8A0000
	v_max3_f32 v76, |v4|, |v5|, v76                            // 000000005FF4: D1D3034C 05320B04
	v_max3_f32 v76, |v6|, |v7|, v76                            // 000000005FFC: D1D3034C 05320F06
	v_max3_f32 v76, |v8|, |v9|, v76                            // 000000006004: D1D3034C 05321308
	v_max3_f32 v76, |v10|, |v11|, v76                          // 00000000600C: D1D3034C 0532170A
	v_max3_f32 v76, |v12|, |v13|, v76                          // 000000006014: D1D3034C 05321B0C
	v_max3_f32 v76, |v14|, |v15|, v76                          // 00000000601C: D1D3034C 05321F0E
	v_max3_f32 v76, |v16|, |v17|, v76                          // 000000006024: D1D3034C 05322310
	v_max3_f32 v76, |v18|, |v19|, v76                          // 00000000602C: D1D3034C 05322712
	v_rcp_f32_e32 v76, v76                                     // 000000006034: 7E98454C
	v_mov_b32_e32 v4, 0x43700000                               // 000000006038: 7E0802FF 43700000
	v_mul_f32_e32 v76, v4, v76                                 // 000000006040: 0A989904
	v_mov_b32_e32 v4, v76                                      // 000000006044: 7E08034C
	v_mov_b32_e32 v5, v4                                       // 000000006048: 7E0A0304
	v_pk_mul_f32 v[44:45], v[4:5], v[44:45]                    // 00000000604C: D3B1402C 18025904
	v_pk_mul_f32 v[46:47], v[4:5], v[46:47]                    // 000000006054: D3B1402E 18025D04
	v_cvt_pk_fp8_f32 v44, v44, v45                             // 00000000605C: D2A2002C 00025B2C
	v_cvt_pk_fp8_f32 v44, v46, v47 op_sel:[0,0,1]              // 000000006064: D2A2402C 00025F2E
	v_pk_mul_f32 v[48:49], v[4:5], v[48:49]                    // 00000000606C: D3B14030 18026104
	v_pk_mul_f32 v[50:51], v[4:5], v[50:51]                    // 000000006074: D3B14032 18026504
	v_cvt_pk_fp8_f32 v48, v48, v49                             // 00000000607C: D2A20030 00026330
	v_cvt_pk_fp8_f32 v48, v50, v51 op_sel:[0,0,1]              // 000000006084: D2A24030 00026732
	v_rcp_f32_e32 v76, v76                                     // 00000000608C: 7E98454C
	v_mov_b32_e32 v77, 0x358637bd                              // 000000006090: 7E9A02FF 358637BD
	v_max3_f32 v77, |v52|, |v53|, v77                          // 000000006098: D1D3034D 05366B34
	v_max3_f32 v77, |v54|, |v55|, v77                          // 0000000060A0: D1D3034D 05366F36
	v_max3_f32 v77, |v56|, |v57|, v77                          // 0000000060A8: D1D3034D 05367338
	v_max3_f32 v77, |v58|, |v59|, v77                          // 0000000060B0: D1D3034D 0536773A
	ds_write_b32 v80, v77                                      // 0000000060B8: D81A0000 00004D50
	s_waitcnt lgkmcnt(0)                                       // 0000000060C0: BF8CC07F
	s_barrier                                                  // 0000000060C4: BF8A0000
	ds_read_b32 v4, v81                                        // 0000000060C8: D86C0000 04000051
	ds_read_b32 v5, v81 offset:64                              // 0000000060D0: D86C0040 05000051
	ds_read_b32 v6, v81 offset:128                             // 0000000060D8: D86C0080 06000051
	ds_read_b32 v7, v81 offset:192                             // 0000000060E0: D86C00C0 07000051
	ds_read_b32 v8, v81 offset:256                             // 0000000060E8: D86C0100 08000051
	ds_read_b32 v9, v81 offset:320                             // 0000000060F0: D86C0140 09000051
	ds_read_b32 v10, v81 offset:384                            // 0000000060F8: D86C0180 0A000051
	ds_read_b32 v11, v81 offset:448                            // 000000006100: D86C01C0 0B000051
	ds_read_b32 v12, v81 offset:512                            // 000000006108: D86C0200 0C000051
	ds_read_b32 v13, v81 offset:576                            // 000000006110: D86C0240 0D000051
	ds_read_b32 v14, v81 offset:640                            // 000000006118: D86C0280 0E000051
	ds_read_b32 v15, v81 offset:704                            // 000000006120: D86C02C0 0F000051
	ds_read_b32 v16, v81 offset:768                            // 000000006128: D86C0300 10000051
	ds_read_b32 v17, v81 offset:832                            // 000000006130: D86C0340 11000051
	ds_read_b32 v18, v81 offset:896                            // 000000006138: D86C0380 12000051
	ds_read_b32 v19, v81 offset:960                            // 000000006140: D86C03C0 13000051
	s_waitcnt lgkmcnt(0)                                       // 000000006148: BF8CC07F
	s_barrier                                                  // 00000000614C: BF8A0000
	v_max3_f32 v77, |v4|, |v5|, v77                            // 000000006150: D1D3034D 05360B04
	v_max3_f32 v77, |v6|, |v7|, v77                            // 000000006158: D1D3034D 05360F06
	v_max3_f32 v77, |v8|, |v9|, v77                            // 000000006160: D1D3034D 05361308
	v_max3_f32 v77, |v10|, |v11|, v77                          // 000000006168: D1D3034D 0536170A
	v_max3_f32 v77, |v12|, |v13|, v77                          // 000000006170: D1D3034D 05361B0C
	v_max3_f32 v77, |v14|, |v15|, v77                          // 000000006178: D1D3034D 05361F0E
	v_max3_f32 v77, |v16|, |v17|, v77                          // 000000006180: D1D3034D 05362310
	v_max3_f32 v77, |v18|, |v19|, v77                          // 000000006188: D1D3034D 05362712
	v_rcp_f32_e32 v77, v77                                     // 000000006190: 7E9A454D
	v_mov_b32_e32 v4, 0x43700000                               // 000000006194: 7E0802FF 43700000
	v_mul_f32_e32 v77, v4, v77                                 // 00000000619C: 0A9A9B04
	v_mov_b32_e32 v4, v77                                      // 0000000061A0: 7E08034D
	v_mov_b32_e32 v5, v4                                       // 0000000061A4: 7E0A0304
	v_pk_mul_f32 v[52:53], v[4:5], v[52:53]                    // 0000000061A8: D3B14034 18026904
	v_pk_mul_f32 v[54:55], v[4:5], v[54:55]                    // 0000000061B0: D3B14036 18026D04
	v_cvt_pk_fp8_f32 v52, v52, v53                             // 0000000061B8: D2A20034 00026B34
	v_cvt_pk_fp8_f32 v52, v54, v55 op_sel:[0,0,1]              // 0000000061C0: D2A24034 00026F36
	v_pk_mul_f32 v[56:57], v[4:5], v[56:57]                    // 0000000061C8: D3B14038 18027104
	v_pk_mul_f32 v[58:59], v[4:5], v[58:59]                    // 0000000061D0: D3B1403A 18027504
	v_cvt_pk_fp8_f32 v56, v56, v57                             // 0000000061D8: D2A20038 00027338
	v_cvt_pk_fp8_f32 v56, v58, v59 op_sel:[0,0,1]              // 0000000061E0: D2A24038 0002773A
	v_rcp_f32_e32 v77, v77                                     // 0000000061E8: 7E9A454D
	v_mov_b32_e32 v78, 0x358637bd                              // 0000000061EC: 7E9C02FF 358637BD
	v_max3_f32 v78, |v60|, |v61|, v78                          // 0000000061F4: D1D3034E 053A7B3C
	v_max3_f32 v78, |v62|, |v63|, v78                          // 0000000061FC: D1D3034E 053A7F3E
	v_max3_f32 v78, |v64|, |v65|, v78                          // 000000006204: D1D3034E 053A8340
	v_max3_f32 v78, |v66|, |v67|, v78                          // 00000000620C: D1D3034E 053A8742
	ds_write_b32 v80, v78                                      // 000000006214: D81A0000 00004E50
	s_waitcnt lgkmcnt(0)                                       // 00000000621C: BF8CC07F
	s_barrier                                                  // 000000006220: BF8A0000
	ds_read_b32 v4, v81                                        // 000000006224: D86C0000 04000051
	ds_read_b32 v5, v81 offset:64                              // 00000000622C: D86C0040 05000051
	ds_read_b32 v6, v81 offset:128                             // 000000006234: D86C0080 06000051
	ds_read_b32 v7, v81 offset:192                             // 00000000623C: D86C00C0 07000051
	ds_read_b32 v8, v81 offset:256                             // 000000006244: D86C0100 08000051
	ds_read_b32 v9, v81 offset:320                             // 00000000624C: D86C0140 09000051
	ds_read_b32 v10, v81 offset:384                            // 000000006254: D86C0180 0A000051
	ds_read_b32 v11, v81 offset:448                            // 00000000625C: D86C01C0 0B000051
	ds_read_b32 v12, v81 offset:512                            // 000000006264: D86C0200 0C000051
	ds_read_b32 v13, v81 offset:576                            // 00000000626C: D86C0240 0D000051
	ds_read_b32 v14, v81 offset:640                            // 000000006274: D86C0280 0E000051
	ds_read_b32 v15, v81 offset:704                            // 00000000627C: D86C02C0 0F000051
	ds_read_b32 v16, v81 offset:768                            // 000000006284: D86C0300 10000051
	ds_read_b32 v17, v81 offset:832                            // 00000000628C: D86C0340 11000051
	ds_read_b32 v18, v81 offset:896                            // 000000006294: D86C0380 12000051
	ds_read_b32 v19, v81 offset:960                            // 00000000629C: D86C03C0 13000051
	s_waitcnt lgkmcnt(0)                                       // 0000000062A4: BF8CC07F
	s_barrier                                                  // 0000000062A8: BF8A0000
	v_max3_f32 v78, |v4|, |v5|, v78                            // 0000000062AC: D1D3034E 053A0B04
	v_max3_f32 v78, |v6|, |v7|, v78                            // 0000000062B4: D1D3034E 053A0F06
	v_max3_f32 v78, |v8|, |v9|, v78                            // 0000000062BC: D1D3034E 053A1308
	v_max3_f32 v78, |v10|, |v11|, v78                          // 0000000062C4: D1D3034E 053A170A
	v_max3_f32 v78, |v12|, |v13|, v78                          // 0000000062CC: D1D3034E 053A1B0C
	v_max3_f32 v78, |v14|, |v15|, v78                          // 0000000062D4: D1D3034E 053A1F0E
	v_max3_f32 v78, |v16|, |v17|, v78                          // 0000000062DC: D1D3034E 053A2310
	v_max3_f32 v78, |v18|, |v19|, v78                          // 0000000062E4: D1D3034E 053A2712
	v_rcp_f32_e32 v78, v78                                     // 0000000062EC: 7E9C454E
	v_mov_b32_e32 v4, 0x43700000                               // 0000000062F0: 7E0802FF 43700000
	v_mul_f32_e32 v78, v4, v78                                 // 0000000062F8: 0A9C9D04
	v_mov_b32_e32 v4, v78                                      // 0000000062FC: 7E08034E
	v_mov_b32_e32 v5, v4                                       // 000000006300: 7E0A0304
	v_pk_mul_f32 v[60:61], v[4:5], v[60:61]                    // 000000006304: D3B1403C 18027904
	v_pk_mul_f32 v[62:63], v[4:5], v[62:63]                    // 00000000630C: D3B1403E 18027D04
	v_cvt_pk_fp8_f32 v60, v60, v61                             // 000000006314: D2A2003C 00027B3C
	v_cvt_pk_fp8_f32 v60, v62, v63 op_sel:[0,0,1]              // 00000000631C: D2A2403C 00027F3E
	v_pk_mul_f32 v[64:65], v[4:5], v[64:65]                    // 000000006324: D3B14040 18028104
	v_pk_mul_f32 v[66:67], v[4:5], v[66:67]                    // 00000000632C: D3B14042 18028504
	v_cvt_pk_fp8_f32 v64, v64, v65                             // 000000006334: D2A20040 00028340
	v_cvt_pk_fp8_f32 v64, v66, v67 op_sel:[0,0,1]              // 00000000633C: D2A24040 00028742
	v_rcp_f32_e32 v78, v78                                     // 000000006344: 7E9C454E
	v_mov_b32_e32 v79, 0x358637bd                              // 000000006348: 7E9E02FF 358637BD
	v_max3_f32 v79, |v68|, |v69|, v79                          // 000000006350: D1D3034F 053E8B44
	v_max3_f32 v79, |v70|, |v71|, v79                          // 000000006358: D1D3034F 053E8F46
	v_max3_f32 v79, |v72|, |v73|, v79                          // 000000006360: D1D3034F 053E9348
	v_max3_f32 v79, |v74|, |v75|, v79                          // 000000006368: D1D3034F 053E974A
	ds_write_b32 v80, v79                                      // 000000006370: D81A0000 00004F50
	s_waitcnt lgkmcnt(0)                                       // 000000006378: BF8CC07F
	s_barrier                                                  // 00000000637C: BF8A0000
	ds_read_b32 v4, v81                                        // 000000006380: D86C0000 04000051
	ds_read_b32 v5, v81 offset:64                              // 000000006388: D86C0040 05000051
	ds_read_b32 v6, v81 offset:128                             // 000000006390: D86C0080 06000051
	ds_read_b32 v7, v81 offset:192                             // 000000006398: D86C00C0 07000051
	ds_read_b32 v8, v81 offset:256                             // 0000000063A0: D86C0100 08000051
	ds_read_b32 v9, v81 offset:320                             // 0000000063A8: D86C0140 09000051
	ds_read_b32 v10, v81 offset:384                            // 0000000063B0: D86C0180 0A000051
	ds_read_b32 v11, v81 offset:448                            // 0000000063B8: D86C01C0 0B000051
	ds_read_b32 v12, v81 offset:512                            // 0000000063C0: D86C0200 0C000051
	ds_read_b32 v13, v81 offset:576                            // 0000000063C8: D86C0240 0D000051
	ds_read_b32 v14, v81 offset:640                            // 0000000063D0: D86C0280 0E000051
	ds_read_b32 v15, v81 offset:704                            // 0000000063D8: D86C02C0 0F000051
	ds_read_b32 v16, v81 offset:768                            // 0000000063E0: D86C0300 10000051
	ds_read_b32 v17, v81 offset:832                            // 0000000063E8: D86C0340 11000051
	ds_read_b32 v18, v81 offset:896                            // 0000000063F0: D86C0380 12000051
	ds_read_b32 v19, v81 offset:960                            // 0000000063F8: D86C03C0 13000051
	s_waitcnt lgkmcnt(0)                                       // 000000006400: BF8CC07F
	s_barrier                                                  // 000000006404: BF8A0000
	v_max3_f32 v79, |v4|, |v5|, v79                            // 000000006408: D1D3034F 053E0B04
	v_max3_f32 v79, |v6|, |v7|, v79                            // 000000006410: D1D3034F 053E0F06
	v_max3_f32 v79, |v8|, |v9|, v79                            // 000000006418: D1D3034F 053E1308
	v_max3_f32 v79, |v10|, |v11|, v79                          // 000000006420: D1D3034F 053E170A
	v_max3_f32 v79, |v12|, |v13|, v79                          // 000000006428: D1D3034F 053E1B0C
	v_max3_f32 v79, |v14|, |v15|, v79                          // 000000006430: D1D3034F 053E1F0E
	v_max3_f32 v79, |v16|, |v17|, v79                          // 000000006438: D1D3034F 053E2310
	v_max3_f32 v79, |v18|, |v19|, v79                          // 000000006440: D1D3034F 053E2712
	v_rcp_f32_e32 v79, v79                                     // 000000006448: 7E9E454F
	v_mov_b32_e32 v4, 0x43700000                               // 00000000644C: 7E0802FF 43700000
	v_mul_f32_e32 v79, v4, v79                                 // 000000006454: 0A9E9F04
	v_mov_b32_e32 v4, v79                                      // 000000006458: 7E08034F
	v_mov_b32_e32 v5, v4                                       // 00000000645C: 7E0A0304
	v_pk_mul_f32 v[68:69], v[4:5], v[68:69]                    // 000000006460: D3B14044 18028904
	v_pk_mul_f32 v[70:71], v[4:5], v[70:71]                    // 000000006468: D3B14046 18028D04
	v_cvt_pk_fp8_f32 v68, v68, v69                             // 000000006470: D2A20044 00028B44
	v_cvt_pk_fp8_f32 v68, v70, v71 op_sel:[0,0,1]              // 000000006478: D2A24044 00028F46
	v_pk_mul_f32 v[72:73], v[4:5], v[72:73]                    // 000000006480: D3B14048 18029104
	v_pk_mul_f32 v[74:75], v[4:5], v[74:75]                    // 000000006488: D3B1404A 18029504
	v_cvt_pk_fp8_f32 v72, v72, v73                             // 000000006490: D2A20048 00029348
	v_cvt_pk_fp8_f32 v72, v74, v75 op_sel:[0,0,1]              // 000000006498: D2A24048 0002974A
	v_rcp_f32_e32 v79, v79                                     // 0000000064A0: 7E9E454F
	v_lshrrev_b32_e32 v4, 5, v0                                // 0000000064A4: 20080085
	v_mul_lo_u32 v20, 34, v4                                   // 0000000064A8: D2850014 000208A2
	v_and_b32_e32 v4, 31, v0                                   // 0000000064B0: 2608009F
	v_lshrrev_b32_e32 v5, 4, v4                                // 0000000064B4: 200A0884
	v_add_u32_e32 v20, v5, v20                                 // 0000000064B8: 68282905
	v_and_b32_e32 v4, 15, v0                                   // 0000000064BC: 2608008F
	v_mul_lo_u32 v5, 2, v4                                     // 0000000064C0: D2850005 00020882
	v_add_u32_e32 v20, v5, v20                                 // 0000000064C8: 68282905
	s_mul_i32 s60, s7, 0x44                                    // 0000000064CC: 923CFF07 00000044
	v_add_u32_e32 v20, s60, v20                                // 0000000064D4: 6828283C
	v_lshlrev_b32_e32 v20, 2, v20                              // 0000000064D8: 24282882
	ds_write_b32 v20, v44                                      // 0000000064DC: D81A0000 00002C14
	ds_write_b32 v20, v48 offset:1088                          // 0000000064E4: D81A0440 00003014
	ds_write_b32 v20, v52 offset:2176                          // 0000000064EC: D81A0880 00003414
	ds_write_b32 v20, v56 offset:3264                          // 0000000064F4: D81A0CC0 00003814
	ds_write_b32 v20, v60 offset:4352                          // 0000000064FC: D81A1100 00003C14
	ds_write_b32 v20, v64 offset:5440                          // 000000006504: D81A1540 00004014
	ds_write_b32 v20, v68 offset:6528                          // 00000000650C: D81A1980 00004414
	ds_write_b32 v20, v72 offset:7616                          // 000000006514: D81A1DC0 00004814
	v_lshrrev_b32_e32 v4, 5, v0                                // 00000000651C: 20080085
	v_xor_b32_e32 v5, 1, v4                                    // 000000006520: 2A0A0881
	s_mul_i32 s60, s65, 1                                      // 000000006524: 923C8141
	s_cmp_eq_u32 s88, 0                                        // 000000006528: BF068058
	s_cselect_b32 s61, 1, 8                                    // 00000000652C: 853D8881
	s_mul_i32 s60, s61, s60                                    // 000000006530: 923C3C3D
	v_readlane_b32 s82, v3, 0                                  // 000000006534: D2890052 00010103
	s_lshr_b32 s61, s82, 24                                    // 00000000653C: 8F3D9852
	s_and_b32 s82, s82, 0xffffff                               // 000000006540: 8652FF52 00FFFFFF
	s_mul_i32 s82, s82, s71                                    // 000000006548: 92524752
	s_mul_i32 s61, s60, s61                                    // 00000000654C: 923D3D3C
	s_add_u32 s82, s82, s61                                    // 000000006550: 80523D52
	v_mul_lo_u32 v6, v5, s82                                   // 000000006554: D2850006 0000A505
	v_readlane_b32 s82, v3, 1                                  // 00000000655C: D2890052 00010303
	s_lshr_b32 s61, s82, 24                                    // 000000006564: 8F3D9852
	s_and_b32 s82, s82, 0xffffff                               // 000000006568: 8652FF52 00FFFFFF
	s_mul_i32 s82, s82, s71                                    // 000000006570: 92524752
	s_mul_i32 s61, s60, s61                                    // 000000006574: 923D3D3C
	s_add_u32 s82, s82, s61                                    // 000000006578: 80523D52
	v_mul_lo_u32 v7, v4, s82                                   // 00000000657C: D2850007 0000A504
	v_add_u32_e32 v34, v6, v7                                  // 000000006584: 68440F06
	v_readlane_b32 s82, v3, 2                                  // 000000006588: D2890052 00010503
	s_lshr_b32 s61, s82, 24                                    // 000000006590: 8F3D9852
	s_and_b32 s82, s82, 0xffffff                               // 000000006594: 8652FF52 00FFFFFF
	s_mul_i32 s82, s82, s71                                    // 00000000659C: 92524752
	s_mul_i32 s61, s60, s61                                    // 0000000065A0: 923D3D3C
	s_add_u32 s82, s82, s61                                    // 0000000065A4: 80523D52
	v_mul_lo_u32 v6, v5, s82                                   // 0000000065A8: D2850006 0000A505
	v_readlane_b32 s82, v3, 3                                  // 0000000065B0: D2890052 00010703
	s_lshr_b32 s61, s82, 24                                    // 0000000065B8: 8F3D9852
	s_and_b32 s82, s82, 0xffffff                               // 0000000065BC: 8652FF52 00FFFFFF
	s_mul_i32 s82, s82, s71                                    // 0000000065C4: 92524752
	s_mul_i32 s61, s60, s61                                    // 0000000065C8: 923D3D3C
	s_add_u32 s82, s82, s61                                    // 0000000065CC: 80523D52
	v_mul_lo_u32 v7, v4, s82                                   // 0000000065D0: D2850007 0000A504
	v_add_u32_e32 v35, v6, v7                                  // 0000000065D8: 68460F06
	v_and_b32_e32 v4, 31, v0                                   // 0000000065DC: 2608009F
	v_lshrrev_b32_e32 v4, 1, v4                                // 0000000065E0: 20080881
	s_cmp_eq_u32 s88, 0                                        // 0000000065E4: BF068058
	s_cselect_b32 s61, 2, 4                                    // 0000000065E8: 853D8482
	v_mul_lo_u32 v4, v4, s61                                   // 0000000065EC: D2850004 00007B04
	v_and_b32_e64 v5, v0, 1                                    // 0000000065F4: D1130005 00010300
	v_add_u32_e32 v4, v4, v5                                   // 0000000065FC: 68080B04
	v_lshlrev_b32_e32 v4, 2, v4                                // 000000006600: 24080882
	v_add_u32_e32 v34, v34, v4                                 // 000000006604: 68440922
	v_add_u32_e32 v35, v35, v4                                 // 000000006608: 68460923
	s_waitcnt lgkmcnt(0)                                       // 00000000660C: BF8CC07F
	s_barrier                                                  // 000000006610: BF8A0000
	ds_read_b32 v44, v21                                       // 000000006614: D86C0000 2C000015
	ds_read_b32 v45, v21 offset:64                             // 00000000661C: D86C0040 2D000015
	ds_read_b32 v46, v21 offset:2176                           // 000000006624: D86C0880 2E000015
	ds_read_b32 v47, v21 offset:2240                           // 00000000662C: D86C08C0 2F000015
	ds_read_b32 v48, v21 offset:4352                           // 000000006634: D86C1100 30000015
	ds_read_b32 v49, v21 offset:4416                           // 00000000663C: D86C1140 31000015
	ds_read_b32 v50, v21 offset:6528                           // 000000006644: D86C1980 32000015
	ds_read_b32 v51, v21 offset:6592                           // 00000000664C: D86C19C0 33000015
	s_waitcnt lgkmcnt(0)                                       // 000000006654: BF8CC07F
	s_mov_b32 s36, -1                                          // 000000006658: BEA400C1
	s_mov_b32 s37, -1                                          // 00000000665C: BEA500C1
	v_mov_b32_e32 v7, 0                                        // 000000006660: 7E0E0280
	s_or_b32 s9, s9, 0x40000                                   // 000000006664: 8709FF09 00040000
	s_mov_b64 exec, s[36:37]                                   // 00000000666C: BEFE0124
	v_mov_b32_e32 v6, v34                                      // 000000006670: 7E0C0322
	s_mov_b64 s[60:61], 0                                      // 000000006674: BEBC0180
	v_readlane_b32 s82, v3, 0                                  // 000000006678: D2890052 00010103
	s_and_b32 s82, s82, 0xffffff                               // 000000006680: 8652FF52 00FFFFFF
	s_cmp_lt_u32 s82, s66                                      // 000000006688: BF0A4252
	s_cselect_b32 s20, s36, s60                                // 00000000668C: 85143C24
	v_readlane_b32 s82, v3, 1                                  // 000000006690: D2890052 00010303
	s_and_b32 s82, s82, 0xffffff                               // 000000006698: 8652FF52 00FFFFFF
	s_cmp_lt_u32 s82, s66                                      // 0000000066A0: BF0A4252
	s_cselect_b32 s21, s36, s60                                // 0000000066A4: 85153C24
	s_mov_b64 exec, s[20:21]                                   // 0000000066A8: BEFE0114
	buffer_store_dword v44, v6, s[8:11], 0 offen               // 0000000066AC: E0701000 80022C06
	buffer_store_dword v46, v6, s[8:11], 0 offen offset:128    // 0000000066B4: E0701080 80022E06
	buffer_store_dword v48, v6, s[8:11], 0 offen offset:256    // 0000000066BC: E0701100 80023006
	buffer_store_dword v50, v6, s[8:11], 0 offen offset:384    // 0000000066C4: E0701180 80023206
	s_mov_b64 exec, s[36:37]                                   // 0000000066CC: BEFE0124
	v_mov_b32_e32 v6, v35                                      // 0000000066D0: 7E0C0323
	s_mov_b64 s[60:61], 0                                      // 0000000066D4: BEBC0180
	v_readlane_b32 s82, v3, 2                                  // 0000000066D8: D2890052 00010503
	s_and_b32 s82, s82, 0xffffff                               // 0000000066E0: 8652FF52 00FFFFFF
	s_cmp_lt_u32 s82, s66                                      // 0000000066E8: BF0A4252
	s_cselect_b32 s20, s36, s60                                // 0000000066EC: 85143C24
	v_readlane_b32 s82, v3, 3                                  // 0000000066F0: D2890052 00010703
	s_and_b32 s82, s82, 0xffffff                               // 0000000066F8: 8652FF52 00FFFFFF
	s_cmp_lt_u32 s82, s66                                      // 000000006700: BF0A4252
	s_cselect_b32 s21, s36, s60                                // 000000006704: 85153C24
	s_mov_b64 exec, s[20:21]                                   // 000000006708: BEFE0114
	buffer_store_dword v45, v6, s[8:11], 0 offen               // 00000000670C: E0701000 80022D06
	buffer_store_dword v47, v6, s[8:11], 0 offen offset:128    // 000000006714: E0701080 80022F06
	buffer_store_dword v49, v6, s[8:11], 0 offen offset:256    // 00000000671C: E0701100 80023106
	buffer_store_dword v51, v6, s[8:11], 0 offen offset:384    // 000000006724: E0701180 80023306
	s_mov_b64 exec, s[36:37]                                   // 00000000672C: BEFE0124
	s_cmp_eq_u32 s7, 0                                         // 000000006730: BF068007
	s_cbranch_scc0 label_2111                                  // 000000006734: BF8411C0
	s_waitcnt vmcnt(8)                                         // 000000006738: BF8C0F78
	s_mov_b32 s8, s90                                          // 00000000673C: BE88005A
	s_mov_b32 s9, s91                                          // 000000006740: BE89005B
	s_mul_i32 s60, s66, s71                                    // 000000006744: 923C4742
	s_add_u32 s8, s60, s8                                      // 000000006748: 8008083C
	s_addc_u32 s9, 0, s9                                       // 00000000674C: 82090980
	s_lshr_b32 s71, s71, 5                                     // 000000006750: 8F478547
	s_mul_i32 s60, s66, s71                                    // 000000006754: 923C4742
	s_mov_b32 s10, s60                                         // 000000006758: BE8A003C
	s_lshr_b32 s61, s65, 5                                     // 00000000675C: 8F3D8541
	s_mul_i32 s60, s2, 16                                      // 000000006760: 923C9002
	v_lshrrev_b32_e32 v4, 24, v30                              // 000000006764: 20083C98
	v_mul_lo_u32 v4, s61, v4                                   // 000000006768: D2850004 0002083D
	v_and_b32_e32 v30, 0xffffff, v30                           // 000000006770: 263C3CFF 00FFFFFF
	v_mul_lo_u32 v30, s71, v30                                 // 000000006778: D285001E 00023C47
	v_add_u32_e32 v30, v4, v30                                 // 000000006780: 683C3D04
	v_add_u32_e32 v30, s60, v30                                // 000000006784: 683C3C3C
	s_mov_b64 exec, 0xffff                                     // 000000006788: BEFE01FF 0000FFFF
	buffer_store_dword v76, v30, s[8:11], 0 offen              // 000000006790: E0701000 80024C1E
	buffer_store_dword v77, v30, s[8:11], 0 offen offset:4     // 000000006798: E0701004 80024D1E
	buffer_store_dword v78, v30, s[8:11], 0 offen offset:8     // 0000000067A0: E0701008 80024E1E
	buffer_store_dword v79, v30, s[8:11], 0 offen offset:12    // 0000000067A8: E070100C 80024F1E
	s_mov_b64 exec, s[36:37]                                   // 0000000067B0: BEFE0124
	s_branch label_2111                                        // 0000000067B4: BF8211A0

00000000000067b8 <label_0F6E>:
	ds_write_b64 v20, v[44:45]                                 // 0000000067B8: D89A0000 00002C14
	ds_write_b64 v20, v[48:49] offset:2176                     // 0000000067C0: D89A0880 00003014
	ds_write_b64 v20, v[52:53] offset:4352                     // 0000000067C8: D89A1100 00003414
	ds_write_b64 v20, v[56:57] offset:6528                     // 0000000067D0: D89A1980 00003814
	ds_write_b64 v20, v[60:61] offset:8704                     // 0000000067D8: D89A2200 00003C14
	ds_write_b64 v20, v[64:65] offset:10880                    // 0000000067E0: D89A2A80 00004014
	ds_write_b64 v20, v[68:69] offset:13056                    // 0000000067E8: D89A3300 00004414
	ds_write_b64 v20, v[72:73] offset:15232                    // 0000000067F0: D89A3B80 00004814
	v_lshrrev_b32_e32 v4, 5, v0                                // 0000000067F8: 20080085
	v_xor_b32_e32 v5, 1, v4                                    // 0000000067FC: 2A0A0881
	s_mul_i32 s60, s65, 1                                      // 000000006800: 923C8141
	s_cmp_eq_u32 s88, 0                                        // 000000006804: BF068058
	s_cselect_b32 s61, 1, 8                                    // 000000006808: 853D8881
	s_mul_i32 s60, s61, s60                                    // 00000000680C: 923C3C3D
	v_readlane_b32 s82, v3, 0                                  // 000000006810: D2890052 00010103
	s_lshr_b32 s61, s82, 24                                    // 000000006818: 8F3D9852
	s_and_b32 s82, s82, 0xffffff                               // 00000000681C: 8652FF52 00FFFFFF
	s_mul_i32 s82, s82, s71                                    // 000000006824: 92524752
	s_mul_i32 s61, s60, s61                                    // 000000006828: 923D3D3C
	s_add_u32 s82, s82, s61                                    // 00000000682C: 80523D52
	v_mul_lo_u32 v6, v5, s82                                   // 000000006830: D2850006 0000A505
	v_readlane_b32 s82, v3, 1                                  // 000000006838: D2890052 00010303
	s_lshr_b32 s61, s82, 24                                    // 000000006840: 8F3D9852
	s_and_b32 s82, s82, 0xffffff                               // 000000006844: 8652FF52 00FFFFFF
	s_mul_i32 s82, s82, s71                                    // 00000000684C: 92524752
	s_mul_i32 s61, s60, s61                                    // 000000006850: 923D3D3C
	s_add_u32 s82, s82, s61                                    // 000000006854: 80523D52
	v_mul_lo_u32 v7, v4, s82                                   // 000000006858: D2850007 0000A504
	v_add_u32_e32 v34, v6, v7                                  // 000000006860: 68440F06
	v_readlane_b32 s82, v3, 2                                  // 000000006864: D2890052 00010503
	s_lshr_b32 s61, s82, 24                                    // 00000000686C: 8F3D9852
	s_and_b32 s82, s82, 0xffffff                               // 000000006870: 8652FF52 00FFFFFF
	s_mul_i32 s82, s82, s71                                    // 000000006878: 92524752
	s_mul_i32 s61, s60, s61                                    // 00000000687C: 923D3D3C
	s_add_u32 s82, s82, s61                                    // 000000006880: 80523D52
	v_mul_lo_u32 v6, v5, s82                                   // 000000006884: D2850006 0000A505
	v_readlane_b32 s82, v3, 3                                  // 00000000688C: D2890052 00010703
	s_lshr_b32 s61, s82, 24                                    // 000000006894: 8F3D9852
	s_and_b32 s82, s82, 0xffffff                               // 000000006898: 8652FF52 00FFFFFF
	s_mul_i32 s82, s82, s71                                    // 0000000068A0: 92524752
	s_mul_i32 s61, s60, s61                                    // 0000000068A4: 923D3D3C
	s_add_u32 s82, s82, s61                                    // 0000000068A8: 80523D52
	v_mul_lo_u32 v7, v4, s82                                   // 0000000068AC: D2850007 0000A504
	v_add_u32_e32 v35, v6, v7                                  // 0000000068B4: 68460F06
	v_and_b32_e32 v4, 31, v0                                   // 0000000068B8: 2608009F
	v_lshrrev_b32_e32 v4, 1, v4                                // 0000000068BC: 20080881
	s_cmp_eq_u32 s88, 0                                        // 0000000068C0: BF068058
	s_cselect_b32 s61, 2, 4                                    // 0000000068C4: 853D8482
	v_mul_lo_u32 v4, v4, s61                                   // 0000000068C8: D2850004 00007B04
	v_and_b32_e64 v5, v0, 1                                    // 0000000068D0: D1130005 00010300
	v_add_u32_e32 v4, v4, v5                                   // 0000000068D8: 68080B04
	v_lshlrev_b32_e32 v4, 2, v4                                // 0000000068DC: 24080882
	v_add_u32_e32 v34, v34, v4                                 // 0000000068E0: 68440922
	v_add_u32_e32 v35, v35, v4                                 // 0000000068E4: 68460923
	s_waitcnt lgkmcnt(0)                                       // 0000000068E8: BF8CC07F
	s_barrier                                                  // 0000000068EC: BF8A0000
	ds_read_b32 v44, v21                                       // 0000000068F0: D86C0000 2C000015
	ds_read_b32 v45, v21 offset:64                             // 0000000068F8: D86C0040 2D000015
	ds_read_b32 v48, v21 offset:2176                           // 000000006900: D86C0880 30000015
	ds_read_b32 v49, v21 offset:2240                           // 000000006908: D86C08C0 31000015
	ds_read_b32 v52, v21 offset:4352                           // 000000006910: D86C1100 34000015
	ds_read_b32 v53, v21 offset:4416                           // 000000006918: D86C1140 35000015
	ds_read_b32 v56, v21 offset:6528                           // 000000006920: D86C1980 38000015
	ds_read_b32 v57, v21 offset:6592                           // 000000006928: D86C19C0 39000015
	ds_read_b32 v60, v21 offset:8704                           // 000000006930: D86C2200 3C000015
	ds_read_b32 v61, v21 offset:8768                           // 000000006938: D86C2240 3D000015
	ds_read_b32 v64, v21 offset:10880                          // 000000006940: D86C2A80 40000015
	ds_read_b32 v65, v21 offset:10944                          // 000000006948: D86C2AC0 41000015
	ds_read_b32 v68, v21 offset:13056                          // 000000006950: D86C3300 44000015
	ds_read_b32 v69, v21 offset:13120                          // 000000006958: D86C3340 45000015
	ds_read_b32 v72, v21 offset:15232                          // 000000006960: D86C3B80 48000015
	ds_read_b32 v73, v21 offset:15296                          // 000000006968: D86C3BC0 49000015
	s_waitcnt lgkmcnt(0)                                       // 000000006970: BF8CC07F
	s_mov_b32 s36, -1                                          // 000000006974: BEA400C1
	s_mov_b32 s37, -1                                          // 000000006978: BEA500C1
	v_mov_b32_e32 v7, 0                                        // 00000000697C: 7E0E0280
	s_mov_b64 exec, s[36:37]                                   // 000000006980: BEFE0124
	v_mov_b32_e32 v6, v34                                      // 000000006984: 7E0C0322
	s_mov_b64 s[60:61], 0                                      // 000000006988: BEBC0180
	v_readlane_b32 s82, v3, 0                                  // 00000000698C: D2890052 00010103
	s_and_b32 s82, s82, 0xffffff                               // 000000006994: 8652FF52 00FFFFFF
	s_cmp_lt_u32 s82, s66                                      // 00000000699C: BF0A4252
	s_cselect_b32 s20, s36, s60                                // 0000000069A0: 85143C24
	v_readlane_b32 s82, v3, 1                                  // 0000000069A4: D2890052 00010303
	s_and_b32 s82, s82, 0xffffff                               // 0000000069AC: 8652FF52 00FFFFFF
	s_cmp_lt_u32 s82, s66                                      // 0000000069B4: BF0A4252
	s_cselect_b32 s21, s36, s60                                // 0000000069B8: 85153C24
	s_mov_b64 exec, s[20:21]                                   // 0000000069BC: BEFE0114
	global_atomic_add_f32 v6, v44, s[8:9]                      // 0000000069C0: DD348000 00082C06
	global_atomic_add_f32 v6, v48, s[8:9] offset:256           // 0000000069C8: DD348100 00083006
	global_atomic_add_f32 v6, v52, s[8:9] offset:512           // 0000000069D0: DD348200 00083406
	global_atomic_add_f32 v6, v56, s[8:9] offset:768           // 0000000069D8: DD348300 00083806
	global_atomic_add_f32 v6, v60, s[8:9] offset:1024          // 0000000069E0: DD348400 00083C06
	global_atomic_add_f32 v6, v64, s[8:9] offset:1280          // 0000000069E8: DD348500 00084006
	global_atomic_add_f32 v6, v68, s[8:9] offset:1536          // 0000000069F0: DD348600 00084406
	global_atomic_add_f32 v6, v72, s[8:9] offset:1792          // 0000000069F8: DD348700 00084806
	s_mov_b64 exec, s[36:37]                                   // 000000006A00: BEFE0124
	v_mov_b32_e32 v6, v35                                      // 000000006A04: 7E0C0323
	s_mov_b64 s[60:61], 0                                      // 000000006A08: BEBC0180
	v_readlane_b32 s82, v3, 2                                  // 000000006A0C: D2890052 00010503
	s_and_b32 s82, s82, 0xffffff                               // 000000006A14: 8652FF52 00FFFFFF
	s_cmp_lt_u32 s82, s66                                      // 000000006A1C: BF0A4252
	s_cselect_b32 s20, s36, s60                                // 000000006A20: 85143C24
	v_readlane_b32 s82, v3, 3                                  // 000000006A24: D2890052 00010703
	s_and_b32 s82, s82, 0xffffff                               // 000000006A2C: 8652FF52 00FFFFFF
	s_cmp_lt_u32 s82, s66                                      // 000000006A34: BF0A4252
	s_cselect_b32 s21, s36, s60                                // 000000006A38: 85153C24
	s_mov_b64 exec, s[20:21]                                   // 000000006A3C: BEFE0114
	global_atomic_add_f32 v6, v45, s[8:9]                      // 000000006A40: DD348000 00082D06
	global_atomic_add_f32 v6, v49, s[8:9] offset:256           // 000000006A48: DD348100 00083106
	global_atomic_add_f32 v6, v53, s[8:9] offset:512           // 000000006A50: DD348200 00083506
	global_atomic_add_f32 v6, v57, s[8:9] offset:768           // 000000006A58: DD348300 00083906
	global_atomic_add_f32 v6, v61, s[8:9] offset:1024          // 000000006A60: DD348400 00083D06
	global_atomic_add_f32 v6, v65, s[8:9] offset:1280          // 000000006A68: DD348500 00084106
	global_atomic_add_f32 v6, v69, s[8:9] offset:1536          // 000000006A70: DD348600 00084506
	global_atomic_add_f32 v6, v73, s[8:9] offset:1792          // 000000006A78: DD348700 00084906
	s_mov_b64 exec, s[36:37]                                   // 000000006A80: BEFE0124
	ds_write_b64 v20, v[46:47]                                 // 000000006A84: D89A0000 00002E14
	ds_write_b64 v20, v[50:51] offset:2176                     // 000000006A8C: D89A0880 00003214
	ds_write_b64 v20, v[54:55] offset:4352                     // 000000006A94: D89A1100 00003614
	ds_write_b64 v20, v[58:59] offset:6528                     // 000000006A9C: D89A1980 00003A14
	ds_write_b64 v20, v[62:63] offset:8704                     // 000000006AA4: D89A2200 00003E14
	ds_write_b64 v20, v[66:67] offset:10880                    // 000000006AAC: D89A2A80 00004214
	ds_write_b64 v20, v[70:71] offset:13056                    // 000000006AB4: D89A3300 00004614
	ds_write_b64 v20, v[74:75] offset:15232                    // 000000006ABC: D89A3B80 00004A14
	s_waitcnt lgkmcnt(0)                                       // 000000006AC4: BF8CC07F
	s_barrier                                                  // 000000006AC8: BF8A0000
	ds_read_b32 v46, v21                                       // 000000006ACC: D86C0000 2E000015
	ds_read_b32 v47, v21 offset:64                             // 000000006AD4: D86C0040 2F000015
	ds_read_b32 v50, v21 offset:2176                           // 000000006ADC: D86C0880 32000015
	ds_read_b32 v51, v21 offset:2240                           // 000000006AE4: D86C08C0 33000015
	ds_read_b32 v54, v21 offset:4352                           // 000000006AEC: D86C1100 36000015
	ds_read_b32 v55, v21 offset:4416                           // 000000006AF4: D86C1140 37000015
	ds_read_b32 v58, v21 offset:6528                           // 000000006AFC: D86C1980 3A000015
	ds_read_b32 v59, v21 offset:6592                           // 000000006B04: D86C19C0 3B000015
	ds_read_b32 v62, v21 offset:8704                           // 000000006B0C: D86C2200 3E000015
	ds_read_b32 v63, v21 offset:8768                           // 000000006B14: D86C2240 3F000015
	ds_read_b32 v66, v21 offset:10880                          // 000000006B1C: D86C2A80 42000015
	ds_read_b32 v67, v21 offset:10944                          // 000000006B24: D86C2AC0 43000015
	ds_read_b32 v70, v21 offset:13056                          // 000000006B2C: D86C3300 46000015
	ds_read_b32 v71, v21 offset:13120                          // 000000006B34: D86C3340 47000015
	ds_read_b32 v74, v21 offset:15232                          // 000000006B3C: D86C3B80 4A000015
	ds_read_b32 v75, v21 offset:15296                          // 000000006B44: D86C3BC0 4B000015
	s_waitcnt lgkmcnt(0)                                       // 000000006B4C: BF8CC07F
	v_mov_b32_e32 v7, 0                                        // 000000006B50: 7E0E0280
	s_mov_b64 exec, s[36:37]                                   // 000000006B54: BEFE0124
	v_mov_b32_e32 v6, v34                                      // 000000006B58: 7E0C0322
	s_mov_b64 s[60:61], 0                                      // 000000006B5C: BEBC0180
	v_readlane_b32 s82, v3, 0                                  // 000000006B60: D2890052 00010103
	s_and_b32 s82, s82, 0xffffff                               // 000000006B68: 8652FF52 00FFFFFF
	s_cmp_lt_u32 s82, s66                                      // 000000006B70: BF0A4252
	s_cselect_b32 s20, s36, s60                                // 000000006B74: 85143C24
	v_readlane_b32 s82, v3, 1                                  // 000000006B78: D2890052 00010303
	s_and_b32 s82, s82, 0xffffff                               // 000000006B80: 8652FF52 00FFFFFF
	s_cmp_lt_u32 s82, s66                                      // 000000006B88: BF0A4252
	s_cselect_b32 s21, s36, s60                                // 000000006B8C: 85153C24
	s_mov_b64 exec, s[20:21]                                   // 000000006B90: BEFE0114
	global_atomic_add_f32 v6, v46, s[8:9] offset:8             // 000000006B94: DD348008 00082E06
	global_atomic_add_f32 v6, v50, s[8:9] offset:264           // 000000006B9C: DD348108 00083206
	global_atomic_add_f32 v6, v54, s[8:9] offset:520           // 000000006BA4: DD348208 00083606
	global_atomic_add_f32 v6, v58, s[8:9] offset:776           // 000000006BAC: DD348308 00083A06
	global_atomic_add_f32 v6, v62, s[8:9] offset:1032          // 000000006BB4: DD348408 00083E06
	global_atomic_add_f32 v6, v66, s[8:9] offset:1288          // 000000006BBC: DD348508 00084206
	global_atomic_add_f32 v6, v70, s[8:9] offset:1544          // 000000006BC4: DD348608 00084606
	global_atomic_add_f32 v6, v74, s[8:9] offset:1800          // 000000006BCC: DD348708 00084A06
	s_mov_b64 exec, s[36:37]                                   // 000000006BD4: BEFE0124
	v_mov_b32_e32 v6, v35                                      // 000000006BD8: 7E0C0323
	s_mov_b64 s[60:61], 0                                      // 000000006BDC: BEBC0180
	v_readlane_b32 s82, v3, 2                                  // 000000006BE0: D2890052 00010503
	s_and_b32 s82, s82, 0xffffff                               // 000000006BE8: 8652FF52 00FFFFFF
	s_cmp_lt_u32 s82, s66                                      // 000000006BF0: BF0A4252
	s_cselect_b32 s20, s36, s60                                // 000000006BF4: 85143C24
	v_readlane_b32 s82, v3, 3                                  // 000000006BF8: D2890052 00010703
	s_and_b32 s82, s82, 0xffffff                               // 000000006C00: 8652FF52 00FFFFFF
	s_cmp_lt_u32 s82, s66                                      // 000000006C08: BF0A4252
	s_cselect_b32 s21, s36, s60                                // 000000006C0C: 85153C24
	s_mov_b64 exec, s[20:21]                                   // 000000006C10: BEFE0114
	global_atomic_add_f32 v6, v47, s[8:9] offset:8             // 000000006C14: DD348008 00082F06
	global_atomic_add_f32 v6, v51, s[8:9] offset:264           // 000000006C1C: DD348108 00083306
	global_atomic_add_f32 v6, v55, s[8:9] offset:520           // 000000006C24: DD348208 00083706
	global_atomic_add_f32 v6, v59, s[8:9] offset:776           // 000000006C2C: DD348308 00083B06
	global_atomic_add_f32 v6, v63, s[8:9] offset:1032          // 000000006C34: DD348408 00083F06
	global_atomic_add_f32 v6, v67, s[8:9] offset:1288          // 000000006C3C: DD348508 00084306
	global_atomic_add_f32 v6, v71, s[8:9] offset:1544          // 000000006C44: DD348608 00084706
	global_atomic_add_f32 v6, v75, s[8:9] offset:1800          // 000000006C4C: DD348708 00084B06
	s_mov_b64 exec, s[36:37]                                   // 000000006C54: BEFE0124
	ds_write_b64 v20, v[76:77]                                 // 000000006C58: D89A0000 00004C14
	ds_write_b64 v20, v[80:81] offset:2176                     // 000000006C60: D89A0880 00005014
	ds_write_b64 v20, v[84:85] offset:4352                     // 000000006C68: D89A1100 00005414
	ds_write_b64 v20, v[88:89] offset:6528                     // 000000006C70: D89A1980 00005814
	ds_write_b64 v20, v[92:93] offset:8704                     // 000000006C78: D89A2200 00005C14
	ds_write_b64 v20, v[96:97] offset:10880                    // 000000006C80: D89A2A80 00006014
	ds_write_b64 v20, v[100:101] offset:13056                  // 000000006C88: D89A3300 00006414
	ds_write_b64 v20, v[104:105] offset:15232                  // 000000006C90: D89A3B80 00006814
	s_waitcnt lgkmcnt(0)                                       // 000000006C98: BF8CC07F
	s_barrier                                                  // 000000006C9C: BF8A0000
	ds_read_b32 v76, v21                                       // 000000006CA0: D86C0000 4C000015
	ds_read_b32 v77, v21 offset:64                             // 000000006CA8: D86C0040 4D000015
	ds_read_b32 v80, v21 offset:2176                           // 000000006CB0: D86C0880 50000015
	ds_read_b32 v81, v21 offset:2240                           // 000000006CB8: D86C08C0 51000015
	ds_read_b32 v84, v21 offset:4352                           // 000000006CC0: D86C1100 54000015
	ds_read_b32 v85, v21 offset:4416                           // 000000006CC8: D86C1140 55000015
	ds_read_b32 v88, v21 offset:6528                           // 000000006CD0: D86C1980 58000015
	ds_read_b32 v89, v21 offset:6592                           // 000000006CD8: D86C19C0 59000015
	ds_read_b32 v92, v21 offset:8704                           // 000000006CE0: D86C2200 5C000015
	ds_read_b32 v93, v21 offset:8768                           // 000000006CE8: D86C2240 5D000015
	ds_read_b32 v96, v21 offset:10880                          // 000000006CF0: D86C2A80 60000015
	ds_read_b32 v97, v21 offset:10944                          // 000000006CF8: D86C2AC0 61000015
	ds_read_b32 v100, v21 offset:13056                         // 000000006D00: D86C3300 64000015
	ds_read_b32 v101, v21 offset:13120                         // 000000006D08: D86C3340 65000015
	ds_read_b32 v104, v21 offset:15232                         // 000000006D10: D86C3B80 68000015
	ds_read_b32 v105, v21 offset:15296                         // 000000006D18: D86C3BC0 69000015
	s_mul_i32 s60, s65, 4                                      // 000000006D20: 923C8441
	s_add_u32 s8, s60, s8                                      // 000000006D24: 8008083C
	s_addc_u32 s9, 0, s9                                       // 000000006D28: 82090980
	s_waitcnt lgkmcnt(0)                                       // 000000006D2C: BF8CC07F
	v_mov_b32_e32 v7, 0                                        // 000000006D30: 7E0E0280
	s_mov_b64 exec, s[36:37]                                   // 000000006D34: BEFE0124
	v_mov_b32_e32 v6, v34                                      // 000000006D38: 7E0C0322
	s_mov_b64 s[60:61], 0                                      // 000000006D3C: BEBC0180
	v_readlane_b32 s82, v3, 0                                  // 000000006D40: D2890052 00010103
	s_and_b32 s82, s82, 0xffffff                               // 000000006D48: 8652FF52 00FFFFFF
	s_cmp_lt_u32 s82, s66                                      // 000000006D50: BF0A4252
	s_cselect_b32 s20, s36, s60                                // 000000006D54: 85143C24
	v_readlane_b32 s82, v3, 1                                  // 000000006D58: D2890052 00010303
	s_and_b32 s82, s82, 0xffffff                               // 000000006D60: 8652FF52 00FFFFFF
	s_cmp_lt_u32 s82, s66                                      // 000000006D68: BF0A4252
	s_cselect_b32 s21, s36, s60                                // 000000006D6C: 85153C24
	s_mov_b64 exec, s[20:21]                                   // 000000006D70: BEFE0114
	global_atomic_add_f32 v6, v76, s[8:9]                      // 000000006D74: DD348000 00084C06
	global_atomic_add_f32 v6, v80, s[8:9] offset:256           // 000000006D7C: DD348100 00085006
	global_atomic_add_f32 v6, v84, s[8:9] offset:512           // 000000006D84: DD348200 00085406
	global_atomic_add_f32 v6, v88, s[8:9] offset:768           // 000000006D8C: DD348300 00085806
	global_atomic_add_f32 v6, v92, s[8:9] offset:1024          // 000000006D94: DD348400 00085C06
	global_atomic_add_f32 v6, v96, s[8:9] offset:1280          // 000000006D9C: DD348500 00086006
	global_atomic_add_f32 v6, v100, s[8:9] offset:1536         // 000000006DA4: DD348600 00086406
	global_atomic_add_f32 v6, v104, s[8:9] offset:1792         // 000000006DAC: DD348700 00086806
	s_mov_b64 exec, s[36:37]                                   // 000000006DB4: BEFE0124
	v_mov_b32_e32 v6, v35                                      // 000000006DB8: 7E0C0323
	s_mov_b64 s[60:61], 0                                      // 000000006DBC: BEBC0180
	v_readlane_b32 s82, v3, 2                                  // 000000006DC0: D2890052 00010503
	s_and_b32 s82, s82, 0xffffff                               // 000000006DC8: 8652FF52 00FFFFFF
	s_cmp_lt_u32 s82, s66                                      // 000000006DD0: BF0A4252
	s_cselect_b32 s20, s36, s60                                // 000000006DD4: 85143C24
	v_readlane_b32 s82, v3, 3                                  // 000000006DD8: D2890052 00010703
	s_and_b32 s82, s82, 0xffffff                               // 000000006DE0: 8652FF52 00FFFFFF
	s_cmp_lt_u32 s82, s66                                      // 000000006DE8: BF0A4252
	s_cselect_b32 s21, s36, s60                                // 000000006DEC: 85153C24
	s_mov_b64 exec, s[20:21]                                   // 000000006DF0: BEFE0114
	global_atomic_add_f32 v6, v77, s[8:9]                      // 000000006DF4: DD348000 00084D06
	global_atomic_add_f32 v6, v81, s[8:9] offset:256           // 000000006DFC: DD348100 00085106
	global_atomic_add_f32 v6, v85, s[8:9] offset:512           // 000000006E04: DD348200 00085506
	global_atomic_add_f32 v6, v89, s[8:9] offset:768           // 000000006E0C: DD348300 00085906
	global_atomic_add_f32 v6, v93, s[8:9] offset:1024          // 000000006E14: DD348400 00085D06
	global_atomic_add_f32 v6, v97, s[8:9] offset:1280          // 000000006E1C: DD348500 00086106
	global_atomic_add_f32 v6, v101, s[8:9] offset:1536         // 000000006E24: DD348600 00086506
	global_atomic_add_f32 v6, v105, s[8:9] offset:1792         // 000000006E2C: DD348700 00086906
	s_mov_b64 exec, s[36:37]                                   // 000000006E34: BEFE0124
	ds_write_b64 v20, v[78:79]                                 // 000000006E38: D89A0000 00004E14
	ds_write_b64 v20, v[82:83] offset:2176                     // 000000006E40: D89A0880 00005214
	ds_write_b64 v20, v[86:87] offset:4352                     // 000000006E48: D89A1100 00005614
	ds_write_b64 v20, v[90:91] offset:6528                     // 000000006E50: D89A1980 00005A14
	ds_write_b64 v20, v[94:95] offset:8704                     // 000000006E58: D89A2200 00005E14
	ds_write_b64 v20, v[98:99] offset:10880                    // 000000006E60: D89A2A80 00006214
	ds_write_b64 v20, v[102:103] offset:13056                  // 000000006E68: D89A3300 00006614
	ds_write_b64 v20, v[106:107] offset:15232                  // 000000006E70: D89A3B80 00006A14
	s_waitcnt lgkmcnt(0)                                       // 000000006E78: BF8CC07F
	s_barrier                                                  // 000000006E7C: BF8A0000
	ds_read_b32 v78, v21                                       // 000000006E80: D86C0000 4E000015
	ds_read_b32 v79, v21 offset:64                             // 000000006E88: D86C0040 4F000015
	ds_read_b32 v82, v21 offset:2176                           // 000000006E90: D86C0880 52000015
	ds_read_b32 v83, v21 offset:2240                           // 000000006E98: D86C08C0 53000015
	ds_read_b32 v86, v21 offset:4352                           // 000000006EA0: D86C1100 56000015
	ds_read_b32 v87, v21 offset:4416                           // 000000006EA8: D86C1140 57000015
	ds_read_b32 v90, v21 offset:6528                           // 000000006EB0: D86C1980 5A000015
	ds_read_b32 v91, v21 offset:6592                           // 000000006EB8: D86C19C0 5B000015
	ds_read_b32 v94, v21 offset:8704                           // 000000006EC0: D86C2200 5E000015
	ds_read_b32 v95, v21 offset:8768                           // 000000006EC8: D86C2240 5F000015
	ds_read_b32 v98, v21 offset:10880                          // 000000006ED0: D86C2A80 62000015
	ds_read_b32 v99, v21 offset:10944                          // 000000006ED8: D86C2AC0 63000015
	ds_read_b32 v102, v21 offset:13056                         // 000000006EE0: D86C3300 66000015
	ds_read_b32 v103, v21 offset:13120                         // 000000006EE8: D86C3340 67000015
	ds_read_b32 v106, v21 offset:15232                         // 000000006EF0: D86C3B80 6A000015
	ds_read_b32 v107, v21 offset:15296                         // 000000006EF8: D86C3BC0 6B000015
	s_waitcnt lgkmcnt(0)                                       // 000000006F00: BF8CC07F
	v_mov_b32_e32 v7, 0                                        // 000000006F04: 7E0E0280
	s_mov_b64 exec, s[36:37]                                   // 000000006F08: BEFE0124
	v_mov_b32_e32 v6, v34                                      // 000000006F0C: 7E0C0322
	s_mov_b64 s[60:61], 0                                      // 000000006F10: BEBC0180
	v_readlane_b32 s82, v3, 0                                  // 000000006F14: D2890052 00010103
	s_and_b32 s82, s82, 0xffffff                               // 000000006F1C: 8652FF52 00FFFFFF
	s_cmp_lt_u32 s82, s66                                      // 000000006F24: BF0A4252
	s_cselect_b32 s20, s36, s60                                // 000000006F28: 85143C24
	v_readlane_b32 s82, v3, 1                                  // 000000006F2C: D2890052 00010303
	s_and_b32 s82, s82, 0xffffff                               // 000000006F34: 8652FF52 00FFFFFF
	s_cmp_lt_u32 s82, s66                                      // 000000006F3C: BF0A4252
	s_cselect_b32 s21, s36, s60                                // 000000006F40: 85153C24
	s_mov_b64 exec, s[20:21]                                   // 000000006F44: BEFE0114
	global_atomic_add_f32 v6, v78, s[8:9] offset:8             // 000000006F48: DD348008 00084E06
	global_atomic_add_f32 v6, v82, s[8:9] offset:264           // 000000006F50: DD348108 00085206
	global_atomic_add_f32 v6, v86, s[8:9] offset:520           // 000000006F58: DD348208 00085606
	global_atomic_add_f32 v6, v90, s[8:9] offset:776           // 000000006F60: DD348308 00085A06
	global_atomic_add_f32 v6, v94, s[8:9] offset:1032          // 000000006F68: DD348408 00085E06
	global_atomic_add_f32 v6, v98, s[8:9] offset:1288          // 000000006F70: DD348508 00086206
	global_atomic_add_f32 v6, v102, s[8:9] offset:1544         // 000000006F78: DD348608 00086606
	global_atomic_add_f32 v6, v106, s[8:9] offset:1800         // 000000006F80: DD348708 00086A06
	s_mov_b64 exec, s[36:37]                                   // 000000006F88: BEFE0124
	v_mov_b32_e32 v6, v35                                      // 000000006F8C: 7E0C0323
	s_mov_b64 s[60:61], 0                                      // 000000006F90: BEBC0180
	v_readlane_b32 s82, v3, 2                                  // 000000006F94: D2890052 00010503
	s_and_b32 s82, s82, 0xffffff                               // 000000006F9C: 8652FF52 00FFFFFF
	s_cmp_lt_u32 s82, s66                                      // 000000006FA4: BF0A4252
	s_cselect_b32 s20, s36, s60                                // 000000006FA8: 85143C24
	v_readlane_b32 s82, v3, 3                                  // 000000006FAC: D2890052 00010703
	s_and_b32 s82, s82, 0xffffff                               // 000000006FB4: 8652FF52 00FFFFFF
	s_cmp_lt_u32 s82, s66                                      // 000000006FBC: BF0A4252
	s_cselect_b32 s21, s36, s60                                // 000000006FC0: 85153C24
	s_mov_b64 exec, s[20:21]                                   // 000000006FC4: BEFE0114
	global_atomic_add_f32 v6, v79, s[8:9] offset:8             // 000000006FC8: DD348008 00084F06
	global_atomic_add_f32 v6, v83, s[8:9] offset:264           // 000000006FD0: DD348108 00085306
	global_atomic_add_f32 v6, v87, s[8:9] offset:520           // 000000006FD8: DD348208 00085706
	global_atomic_add_f32 v6, v91, s[8:9] offset:776           // 000000006FE0: DD348308 00085B06
	global_atomic_add_f32 v6, v95, s[8:9] offset:1032          // 000000006FE8: DD348408 00085F06
	global_atomic_add_f32 v6, v99, s[8:9] offset:1288          // 000000006FF0: DD348508 00086306
	global_atomic_add_f32 v6, v103, s[8:9] offset:1544         // 000000006FF8: DD348608 00086706
	global_atomic_add_f32 v6, v107, s[8:9] offset:1800         // 000000007000: DD348708 00086B06
	s_mov_b64 exec, s[36:37]                                   // 000000007008: BEFE0124
	s_branch label_2111                                        // 00000000700C: BF820F8A

0000000000007010 <label_1187>:
	s_waitcnt vmcnt(20) lgkmcnt(0)                             // 000000007010: BF8C4074
	v_mul_f32_dpp v4, v24, v31 row_newbcast:0 row_mask:0xf bank_mask:0xf// 000000007014: 0A083EFA FF015018
	v_mfma_f32_16x16x32_fp8_fp8 v[8:11], a[16:17], a[0:1], 0   // 00000000701C: D3F30008 1A020110
	buffer_load_dword v25, v22, s[32:35], 0 offen              // 000000007024: E0501000 80081916
	buffer_load_dwordx4 a[144:147], v36, s[24:27], 0 offen     // 00000000702C: E05C1000 80869024
	v_mfma_f32_16x16x32_fp8_fp8 v[8:11], a[18:19], a[2:3], v[8:11]// 000000007034: D3F30008 1C220512
	v_mfma_f32_16x16x32_fp8_fp8 v[8:11], a[20:21], a[4:5], v[8:11]// 00000000703C: D3F30008 1C220914
	v_mfma_f32_16x16x32_fp8_fp8 v[8:11], a[22:23], a[6:7], v[8:11]// 000000007044: D3F30008 1C220D16
	v_mfma_f32_16x16x32_fp8_fp8 v[12:15], a[24:25], a[0:1], 0  // 00000000704C: D3F3000C 1A020118
	buffer_load_dwordx4 a[148:151], v36, s[24:27], 0 offen offset:1024// 000000007054: E05C1400 80869424
	v_mfma_f32_16x16x32_fp8_fp8 v[12:15], a[26:27], a[2:3], v[12:15]// 00000000705C: D3F3000C 1C32051A
	v_mfma_f32_16x16x32_fp8_fp8 v[12:15], a[28:29], a[4:5], v[12:15]// 000000007064: D3F3000C 1C32091C
	v_mfma_f32_16x16x32_fp8_fp8 v[12:15], a[30:31], a[6:7], v[12:15]// 00000000706C: D3F3000C 1C320D1E
	v_fma_f32 v44, v8, v4, v44                                 // 000000007074: D1CB002C 04B20908
	v_fma_f32 v45, v9, v4, v45                                 // 00000000707C: D1CB002D 04B60909
	v_fma_f32 v46, v10, v4, v46                                // 000000007084: D1CB002E 04BA090A
	v_fma_f32 v47, v11, v4, v47                                // 00000000708C: D1CB002F 04BE090B
	v_mul_f32_dpp v6, v24, v31 row_newbcast:1 row_mask:0xf bank_mask:0xf// 000000007094: 0A0C3EFA FF015118
	v_mfma_f32_16x16x32_fp8_fp8 v[8:11], a[32:33], a[0:1], 0   // 00000000709C: D3F30008 1A020120
	buffer_load_dwordx4 a[152:155], v37, s[24:27], 0 offen     // 0000000070A4: E05C1000 80869825
	v_mfma_f32_16x16x32_fp8_fp8 v[8:11], a[34:35], a[2:3], v[8:11]// 0000000070AC: D3F30008 1C220522
	v_mfma_f32_16x16x32_fp8_fp8 v[8:11], a[36:37], a[4:5], v[8:11]// 0000000070B4: D3F30008 1C220924
	v_mfma_f32_16x16x32_fp8_fp8 v[8:11], a[38:39], a[6:7], v[8:11]// 0000000070BC: D3F30008 1C220D26
	v_fma_f32 v48, v12, v4, v48                                // 0000000070C4: D1CB0030 04C2090C
	v_fma_f32 v49, v13, v4, v49                                // 0000000070CC: D1CB0031 04C6090D
	v_fma_f32 v50, v14, v4, v50                                // 0000000070D4: D1CB0032 04CA090E
	v_fma_f32 v51, v15, v4, v51                                // 0000000070DC: D1CB0033 04CE090F
	v_mfma_f32_16x16x32_fp8_fp8 v[12:15], a[40:41], a[0:1], 0  // 0000000070E4: D3F3000C 1A020128
	buffer_load_dwordx4 a[156:159], v37, s[24:27], 0 offen offset:1024// 0000000070EC: E05C1400 80869C25
	v_mfma_f32_16x16x32_fp8_fp8 v[12:15], a[42:43], a[2:3], v[12:15]// 0000000070F4: D3F3000C 1C32052A
	v_mfma_f32_16x16x32_fp8_fp8 v[12:15], a[44:45], a[4:5], v[12:15]// 0000000070FC: D3F3000C 1C32092C
	v_mfma_f32_16x16x32_fp8_fp8 v[12:15], a[46:47], a[6:7], v[12:15]// 000000007104: D3F3000C 1C320D2E
	v_fma_f32 v52, v8, v6, v52                                 // 00000000710C: D1CB0034 04D20D08
	v_fma_f32 v53, v9, v6, v53                                 // 000000007114: D1CB0035 04D60D09
	v_fma_f32 v54, v10, v6, v54                                // 00000000711C: D1CB0036 04DA0D0A
	v_fma_f32 v55, v11, v6, v55                                // 000000007124: D1CB0037 04DE0D0B
	v_mul_f32_dpp v4, v24, v31 row_newbcast:2 row_mask:0xf bank_mask:0xf// 00000000712C: 0A083EFA FF015218
	v_mfma_f32_16x16x32_fp8_fp8 v[8:11], a[48:49], a[0:1], 0   // 000000007134: D3F30008 1A020130
	buffer_load_dwordx4 a[160:163], v38, s[24:27], 0 offen     // 00000000713C: E05C1000 8086A026
	v_mfma_f32_16x16x32_fp8_fp8 v[8:11], a[50:51], a[2:3], v[8:11]// 000000007144: D3F30008 1C220532
	v_mfma_f32_16x16x32_fp8_fp8 v[8:11], a[52:53], a[4:5], v[8:11]// 00000000714C: D3F30008 1C220934
	v_mfma_f32_16x16x32_fp8_fp8 v[8:11], a[54:55], a[6:7], v[8:11]// 000000007154: D3F30008 1C220D36
	v_fma_f32 v56, v12, v6, v56                                // 00000000715C: D1CB0038 04E20D0C
	v_fma_f32 v57, v13, v6, v57                                // 000000007164: D1CB0039 04E60D0D
	v_fma_f32 v58, v14, v6, v58                                // 00000000716C: D1CB003A 04EA0D0E
	v_fma_f32 v59, v15, v6, v59                                // 000000007174: D1CB003B 04EE0D0F
	v_mfma_f32_16x16x32_fp8_fp8 v[12:15], a[56:57], a[0:1], 0  // 00000000717C: D3F3000C 1A020138
	buffer_load_dwordx4 a[164:167], v38, s[24:27], 0 offen offset:1024// 000000007184: E05C1400 8086A426
	v_mfma_f32_16x16x32_fp8_fp8 v[12:15], a[58:59], a[2:3], v[12:15]// 00000000718C: D3F3000C 1C32053A
	v_mfma_f32_16x16x32_fp8_fp8 v[12:15], a[60:61], a[4:5], v[12:15]// 000000007194: D3F3000C 1C32093C
	v_mfma_f32_16x16x32_fp8_fp8 v[12:15], a[62:63], a[6:7], v[12:15]// 00000000719C: D3F3000C 1C320D3E
	v_fma_f32 v60, v8, v4, v60                                 // 0000000071A4: D1CB003C 04F20908
	v_fma_f32 v61, v9, v4, v61                                 // 0000000071AC: D1CB003D 04F60909
	v_fma_f32 v62, v10, v4, v62                                // 0000000071B4: D1CB003E 04FA090A
	v_fma_f32 v63, v11, v4, v63                                // 0000000071BC: D1CB003F 04FE090B
	v_mul_f32_dpp v6, v24, v31 row_newbcast:3 row_mask:0xf bank_mask:0xf// 0000000071C4: 0A0C3EFA FF015318
	v_mfma_f32_16x16x32_fp8_fp8 v[8:11], a[64:65], a[0:1], 0   // 0000000071CC: D3F30008 1A020140
	buffer_load_dwordx4 a[168:171], v39, s[24:27], 0 offen     // 0000000071D4: E05C1000 8086A827
	v_mfma_f32_16x16x32_fp8_fp8 v[8:11], a[66:67], a[2:3], v[8:11]// 0000000071DC: D3F30008 1C220542
	v_mfma_f32_16x16x32_fp8_fp8 v[8:11], a[68:69], a[4:5], v[8:11]// 0000000071E4: D3F30008 1C220944
	v_mfma_f32_16x16x32_fp8_fp8 v[8:11], a[70:71], a[6:7], v[8:11]// 0000000071EC: D3F30008 1C220D46
	v_fma_f32 v64, v12, v4, v64                                // 0000000071F4: D1CB0040 0502090C
	v_fma_f32 v65, v13, v4, v65                                // 0000000071FC: D1CB0041 0506090D
	v_fma_f32 v66, v14, v4, v66                                // 000000007204: D1CB0042 050A090E
	v_fma_f32 v67, v15, v4, v67                                // 00000000720C: D1CB0043 050E090F
	v_mfma_f32_16x16x32_fp8_fp8 v[12:15], a[72:73], a[0:1], 0  // 000000007214: D3F3000C 1A020148
	buffer_load_dwordx4 a[172:175], v39, s[24:27], 0 offen offset:1024// 00000000721C: E05C1400 8086AC27
	v_mfma_f32_16x16x32_fp8_fp8 v[12:15], a[74:75], a[2:3], v[12:15]// 000000007224: D3F3000C 1C32054A
	v_mfma_f32_16x16x32_fp8_fp8 v[12:15], a[76:77], a[4:5], v[12:15]// 00000000722C: D3F3000C 1C32094C
	v_mfma_f32_16x16x32_fp8_fp8 v[12:15], a[78:79], a[6:7], v[12:15]// 000000007234: D3F3000C 1C320D4E
	v_fma_f32 v68, v8, v6, v68                                 // 00000000723C: D1CB0044 05120D08
	v_fma_f32 v69, v9, v6, v69                                 // 000000007244: D1CB0045 05160D09
	v_fma_f32 v70, v10, v6, v70                                // 00000000724C: D1CB0046 051A0D0A
	v_fma_f32 v71, v11, v6, v71                                // 000000007254: D1CB0047 051E0D0B
	v_fma_f32 v72, v12, v6, v72                                // 00000000725C: D1CB0048 05220D0C
	v_fma_f32 v73, v13, v6, v73                                // 000000007264: D1CB0049 05260D0D
	v_fma_f32 v74, v14, v6, v74                                // 00000000726C: D1CB004A 052A0D0E
	v_fma_f32 v75, v15, v6, v75                                // 000000007274: D1CB004B 052E0D0F
	buffer_load_dwordx4 a[176:179], v40, s[24:27], 0 offen     // 00000000727C: E05C1000 8086B028
	buffer_load_dwordx4 a[180:183], v40, s[24:27], 0 offen offset:1024// 000000007284: E05C1400 8086B428
	buffer_load_dwordx4 a[184:187], v41, s[24:27], 0 offen     // 00000000728C: E05C1000 8086B829
	buffer_load_dwordx4 a[188:191], v41, s[24:27], 0 offen offset:1024// 000000007294: E05C1400 8086BC29
	buffer_load_dwordx4 a[192:195], v42, s[24:27], 0 offen     // 00000000729C: E05C1000 8086C02A
	buffer_load_dwordx4 a[196:199], v42, s[24:27], 0 offen offset:1024// 0000000072A4: E05C1400 8086C42A
	buffer_load_dwordx4 a[200:203], v43, s[24:27], 0 offen     // 0000000072AC: E05C1000 8086C82B
	buffer_load_dwordx4 a[204:207], v43, s[24:27], 0 offen offset:1024// 0000000072B4: E05C1400 8086CC2B
	buffer_load_dword v34, s[20:23], 0 offen lds               // 0000000072BC: E0511000 80050022
	s_add_u32 m0, 0x100, s50                                   // 0000000072C4: 807C32FF 00000100
	buffer_load_dword v35, s[20:23], 0 offen lds               // 0000000072CC: E0511000 80050023
	s_add_u32 m0, 0, s48                                       // 0000000072D4: 807C3080
	buffer_load_dword v33, v30, s[28:31], 0 offen              // 0000000072D8: E0501000 8007211E
	s_waitcnt vmcnt(20)                                        // 0000000072E0: BF8C4F74
	s_barrier                                                  // 0000000072E4: BF8A0000
	v_mul_f32_dpp v4, v27, v31 row_newbcast:0 row_mask:0xf bank_mask:0xf// 0000000072E8: 0A083EFA FF01501B
	v_mfma_f32_16x16x32_fp8_fp8 v[8:11], a[80:81], a[0:1], 0   // 0000000072F0: D3F30008 1A020150
	buffer_load_dword v28, v23, s[32:35], 0 offen              // 0000000072F8: E0501000 80081C17
	buffer_load_dwordx4 a[16:19], v36, s[84:87], 0 offen       // 000000007300: E05C1000 80951024
	v_mfma_f32_16x16x32_fp8_fp8 v[8:11], a[82:83], a[2:3], v[8:11]// 000000007308: D3F30008 1C220552
	v_mfma_f32_16x16x32_fp8_fp8 v[8:11], a[84:85], a[4:5], v[8:11]// 000000007310: D3F30008 1C220954
	ds_read_b128 a[8:11], v2 offset:2176                       // 000000007318: DBFE0880 08000002
	ds_read_b128 a[12:15], v2 offset:2240                      // 000000007320: DBFE08C0 0C000002
	v_mfma_f32_16x16x32_fp8_fp8 v[8:11], a[86:87], a[6:7], v[8:11]// 000000007328: D3F30008 1C220D56
	v_mfma_f32_16x16x32_fp8_fp8 v[12:15], a[88:89], a[0:1], 0  // 000000007330: D3F3000C 1A020158
	buffer_load_dwordx4 a[20:23], v36, s[84:87], 0 offen offset:1024// 000000007338: E05C1400 80951424
	v_mfma_f32_16x16x32_fp8_fp8 v[12:15], a[90:91], a[2:3], v[12:15]// 000000007340: D3F3000C 1C32055A
	v_mfma_f32_16x16x32_fp8_fp8 v[12:15], a[92:93], a[4:5], v[12:15]// 000000007348: D3F3000C 1C32095C
	v_mfma_f32_16x16x32_fp8_fp8 v[12:15], a[94:95], a[6:7], v[12:15]// 000000007350: D3F3000C 1C320D5E
	v_fma_f32 v76, v8, v4, v76                                 // 000000007358: D1CB004C 05320908
	v_fma_f32 v77, v9, v4, v77                                 // 000000007360: D1CB004D 05360909
	v_fma_f32 v78, v10, v4, v78                                // 000000007368: D1CB004E 053A090A
	v_fma_f32 v79, v11, v4, v79                                // 000000007370: D1CB004F 053E090B
	v_mul_f32_dpp v6, v27, v31 row_newbcast:1 row_mask:0xf bank_mask:0xf// 000000007378: 0A0C3EFA FF01511B
	v_mfma_f32_16x16x32_fp8_fp8 v[8:11], a[96:97], a[0:1], 0   // 000000007380: D3F30008 1A020160
	buffer_load_dwordx4 a[24:27], v37, s[84:87], 0 offen       // 000000007388: E05C1000 80951825
	v_mfma_f32_16x16x32_fp8_fp8 v[8:11], a[98:99], a[2:3], v[8:11]// 000000007390: D3F30008 1C220562
	v_mfma_f32_16x16x32_fp8_fp8 v[8:11], a[100:101], a[4:5], v[8:11]// 000000007398: D3F30008 1C220964
	v_mfma_f32_16x16x32_fp8_fp8 v[8:11], a[102:103], a[6:7], v[8:11]// 0000000073A0: D3F30008 1C220D66
	v_fma_f32 v80, v12, v4, v80                                // 0000000073A8: D1CB0050 0542090C
	v_fma_f32 v81, v13, v4, v81                                // 0000000073B0: D1CB0051 0546090D
	v_fma_f32 v82, v14, v4, v82                                // 0000000073B8: D1CB0052 054A090E
	v_fma_f32 v83, v15, v4, v83                                // 0000000073C0: D1CB0053 054E090F
	v_mfma_f32_16x16x32_fp8_fp8 v[12:15], a[104:105], a[0:1], 0// 0000000073C8: D3F3000C 1A020168
	buffer_load_dwordx4 a[28:31], v37, s[84:87], 0 offen offset:1024// 0000000073D0: E05C1400 80951C25
	v_mfma_f32_16x16x32_fp8_fp8 v[12:15], a[106:107], a[2:3], v[12:15]// 0000000073D8: D3F3000C 1C32056A
	v_mfma_f32_16x16x32_fp8_fp8 v[12:15], a[108:109], a[4:5], v[12:15]// 0000000073E0: D3F3000C 1C32096C
	v_mfma_f32_16x16x32_fp8_fp8 v[12:15], a[110:111], a[6:7], v[12:15]// 0000000073E8: D3F3000C 1C320D6E
	v_fma_f32 v84, v8, v6, v84                                 // 0000000073F0: D1CB0054 05520D08
	v_fma_f32 v85, v9, v6, v85                                 // 0000000073F8: D1CB0055 05560D09
	v_fma_f32 v86, v10, v6, v86                                // 000000007400: D1CB0056 055A0D0A
	v_fma_f32 v87, v11, v6, v87                                // 000000007408: D1CB0057 055E0D0B
	v_mul_f32_dpp v4, v27, v31 row_newbcast:2 row_mask:0xf bank_mask:0xf// 000000007410: 0A083EFA FF01521B
	v_mfma_f32_16x16x32_fp8_fp8 v[8:11], a[112:113], a[0:1], 0 // 000000007418: D3F30008 1A020170
	buffer_load_dwordx4 a[32:35], v38, s[84:87], 0 offen       // 000000007420: E05C1000 80952026
	v_mfma_f32_16x16x32_fp8_fp8 v[8:11], a[114:115], a[2:3], v[8:11]// 000000007428: D3F30008 1C220572
	v_mfma_f32_16x16x32_fp8_fp8 v[8:11], a[116:117], a[4:5], v[8:11]// 000000007430: D3F30008 1C220974
	v_mfma_f32_16x16x32_fp8_fp8 v[8:11], a[118:119], a[6:7], v[8:11]// 000000007438: D3F30008 1C220D76
	v_fma_f32 v88, v12, v6, v88                                // 000000007440: D1CB0058 05620D0C
	v_fma_f32 v89, v13, v6, v89                                // 000000007448: D1CB0059 05660D0D
	v_fma_f32 v90, v14, v6, v90                                // 000000007450: D1CB005A 056A0D0E
	v_fma_f32 v91, v15, v6, v91                                // 000000007458: D1CB005B 056E0D0F
	v_mfma_f32_16x16x32_fp8_fp8 v[12:15], a[120:121], a[0:1], 0// 000000007460: D3F3000C 1A020178
	buffer_load_dwordx4 a[36:39], v38, s[84:87], 0 offen offset:1024// 000000007468: E05C1400 80952426
	v_mfma_f32_16x16x32_fp8_fp8 v[12:15], a[122:123], a[2:3], v[12:15]// 000000007470: D3F3000C 1C32057A
	v_mfma_f32_16x16x32_fp8_fp8 v[12:15], a[124:125], a[4:5], v[12:15]// 000000007478: D3F3000C 1C32097C
	v_mfma_f32_16x16x32_fp8_fp8 v[12:15], a[126:127], a[6:7], v[12:15]// 000000007480: D3F3000C 1C320D7E
	v_fma_f32 v92, v8, v4, v92                                 // 000000007488: D1CB005C 05720908
	v_fma_f32 v93, v9, v4, v93                                 // 000000007490: D1CB005D 05760909
	v_fma_f32 v94, v10, v4, v94                                // 000000007498: D1CB005E 057A090A
	v_fma_f32 v95, v11, v4, v95                                // 0000000074A0: D1CB005F 057E090B
	v_mul_f32_dpp v6, v27, v31 row_newbcast:3 row_mask:0xf bank_mask:0xf// 0000000074A8: 0A0C3EFA FF01531B
	v_mfma_f32_16x16x32_fp8_fp8 v[8:11], a[128:129], a[0:1], 0 // 0000000074B0: D3F30008 1A020180
	buffer_load_dwordx4 a[40:43], v39, s[84:87], 0 offen       // 0000000074B8: E05C1000 80952827
	s_add_u32 s60, 0x180, s80                                  // 0000000074C0: 803C50FF 00000180
	s_cmp_lt_u32 s60, s81                                      // 0000000074C8: BF0A513C
	s_cselect_b32 s57, s57, 0                                  // 0000000074CC: 85398039
	s_cselect_b32 s3, s3, 0                                    // 0000000074D0: 85038003
	v_mfma_f32_16x16x32_fp8_fp8 v[8:11], a[130:131], a[2:3], v[8:11]// 0000000074D4: D3F30008 1C220582
	s_add_u32 s60, 0x100, s80                                  // 0000000074DC: 803C50FF 00000100
	s_cmp_lt_u32 s60, s81                                      // 0000000074E4: BF0A513C
	s_cselect_b32 s58, s58, 0                                  // 0000000074E8: 853A803A
	v_mfma_f32_16x16x32_fp8_fp8 v[8:11], a[132:133], a[4:5], v[8:11]// 0000000074EC: D3F30008 1C220984
	s_add_u32 s60, 0x100, s80                                  // 0000000074F4: 803C50FF 00000100
	s_cmp_lt_u32 s60, s81                                      // 0000000074FC: BF0A513C
	s_cselect_b32 s83, s83, 0                                  // 000000007500: 85538053
	s_cselect_b32 s4, s4, 0                                    // 000000007504: 85048004
	v_mfma_f32_16x16x32_fp8_fp8 v[8:11], a[134:135], a[6:7], v[8:11]// 000000007508: D3F30008 1C220D86
	s_add_u32 s24, s58, s24                                    // 000000007510: 8018183A
	s_addc_u32 s25, 0, s25                                     // 000000007514: 82191980
	v_fma_f32 v96, v12, v4, v96                                // 000000007518: D1CB0060 0582090C
	v_fma_f32 v97, v13, v4, v97                                // 000000007520: D1CB0061 0586090D
	v_fma_f32 v98, v14, v4, v98                                // 000000007528: D1CB0062 058A090E
	v_fma_f32 v99, v15, v4, v99                                // 000000007530: D1CB0063 058E090F
	v_mfma_f32_16x16x32_fp8_fp8 v[12:15], a[136:137], a[0:1], 0// 000000007538: D3F3000C 1A020188
	buffer_load_dwordx4 a[44:47], v39, s[84:87], 0 offen offset:1024// 000000007540: E05C1400 80952C27
	s_add_u32 s20, s57, s20                                    // 000000007548: 80141439
	s_addc_u32 s21, 0, s21                                     // 00000000754C: 82151580
	s_add_u32 s28, s3, s28                                     // 000000007550: 801C1C03
	s_addc_u32 s29, 0, s29                                     // 000000007554: 821D1D80
	v_mfma_f32_16x16x32_fp8_fp8 v[12:15], a[138:139], a[2:3], v[12:15]// 000000007558: D3F3000C 1C32058A
	v_mfma_f32_16x16x32_fp8_fp8 v[12:15], a[140:141], a[4:5], v[12:15]// 000000007560: D3F3000C 1C32098C
	s_add_u32 s32, s4, s32                                     // 000000007568: 80202004
	s_addc_u32 s33, 0, s33                                     // 00000000756C: 82212180
	v_mfma_f32_16x16x32_fp8_fp8 v[12:15], a[142:143], a[6:7], v[12:15]// 000000007570: D3F3000C 1C320D8E
	v_fma_f32 v100, v8, v6, v100                               // 000000007578: D1CB0064 05920D08
	v_fma_f32 v101, v9, v6, v101                               // 000000007580: D1CB0065 05960D09
	v_fma_f32 v102, v10, v6, v102                              // 000000007588: D1CB0066 059A0D0A
	v_fma_f32 v103, v11, v6, v103                              // 000000007590: D1CB0067 059E0D0B
	v_fma_f32 v104, v12, v6, v104                              // 000000007598: D1CB0068 05A20D0C
	v_fma_f32 v105, v13, v6, v105                              // 0000000075A0: D1CB0069 05A60D0D
	v_fma_f32 v106, v14, v6, v106                              // 0000000075A8: D1CB006A 05AA0D0E
	v_fma_f32 v107, v15, v6, v107                              // 0000000075B0: D1CB006B 05AE0D0F
	buffer_load_dwordx4 a[48:51], v40, s[84:87], 0 offen       // 0000000075B8: E05C1000 80953028
	buffer_load_dwordx4 a[52:55], v40, s[84:87], 0 offen offset:1024// 0000000075C0: E05C1400 80953428
	buffer_load_dwordx4 a[56:59], v41, s[84:87], 0 offen       // 0000000075C8: E05C1000 80953829
	buffer_load_dwordx4 a[60:63], v41, s[84:87], 0 offen offset:1024// 0000000075D0: E05C1400 80953C29
	buffer_load_dwordx4 a[64:67], v42, s[84:87], 0 offen       // 0000000075D8: E05C1000 8095402A
	buffer_load_dwordx4 a[68:71], v42, s[84:87], 0 offen offset:1024// 0000000075E0: E05C1400 8095442A
	buffer_load_dwordx4 a[72:75], v43, s[84:87], 0 offen       // 0000000075E8: E05C1000 8095482B
	buffer_load_dwordx4 a[76:79], v43, s[84:87], 0 offen offset:1024// 0000000075F0: E05C1400 80954C2B
	s_add_u32 s84, s83, s84                                    // 0000000075F8: 80545453
	s_addc_u32 s85, 0, s85                                     // 0000000075FC: 82555580
	s_addk_i32 s80, 0x80                                       // 000000007600: B7500080
	s_cmp_lt_i32 s80, s81                                      // 000000007604: BF045150
	s_cbranch_scc0 label_1A82                                  // 000000007608: BF84077C
	s_waitcnt vmcnt(20) lgkmcnt(0)                             // 00000000760C: BF8C4074
	v_mul_f32_dpp v4, v25, v32 row_newbcast:0 row_mask:0xf bank_mask:0xf// 000000007610: 0A0840FA FF015019
	v_mfma_f32_16x16x32_fp8_fp8 v[8:11], a[144:145], a[8:9], 0 // 000000007618: D3F30008 1A021190
	buffer_load_dword v26, v22, s[32:35], 0 offen              // 000000007620: E0501000 80081A16
	buffer_load_dwordx4 a[80:83], v36, s[24:27], 0 offen       // 000000007628: E05C1000 80865024
	v_mfma_f32_16x16x32_fp8_fp8 v[8:11], a[146:147], a[10:11], v[8:11]// 000000007630: D3F30008 1C221592
	v_mfma_f32_16x16x32_fp8_fp8 v[8:11], a[148:149], a[12:13], v[8:11]// 000000007638: D3F30008 1C221994
	v_mfma_f32_16x16x32_fp8_fp8 v[8:11], a[150:151], a[14:15], v[8:11]// 000000007640: D3F30008 1C221D96
	v_mfma_f32_16x16x32_fp8_fp8 v[12:15], a[152:153], a[8:9], 0// 000000007648: D3F3000C 1A021198
	buffer_load_dwordx4 a[84:87], v36, s[24:27], 0 offen offset:1024// 000000007650: E05C1400 80865424
	v_mfma_f32_16x16x32_fp8_fp8 v[12:15], a[154:155], a[10:11], v[12:15]// 000000007658: D3F3000C 1C32159A
	v_mfma_f32_16x16x32_fp8_fp8 v[12:15], a[156:157], a[12:13], v[12:15]// 000000007660: D3F3000C 1C32199C
	v_mfma_f32_16x16x32_fp8_fp8 v[12:15], a[158:159], a[14:15], v[12:15]// 000000007668: D3F3000C 1C321D9E
	v_fma_f32 v44, v8, v4, v44                                 // 000000007670: D1CB002C 04B20908
	v_fma_f32 v45, v9, v4, v45                                 // 000000007678: D1CB002D 04B60909
	v_fma_f32 v46, v10, v4, v46                                // 000000007680: D1CB002E 04BA090A
	v_fma_f32 v47, v11, v4, v47                                // 000000007688: D1CB002F 04BE090B
	v_mul_f32_dpp v6, v25, v32 row_newbcast:1 row_mask:0xf bank_mask:0xf// 000000007690: 0A0C40FA FF015119
	v_mfma_f32_16x16x32_fp8_fp8 v[8:11], a[160:161], a[8:9], 0 // 000000007698: D3F30008 1A0211A0
	buffer_load_dwordx4 a[88:91], v37, s[24:27], 0 offen       // 0000000076A0: E05C1000 80865825
	v_mfma_f32_16x16x32_fp8_fp8 v[8:11], a[162:163], a[10:11], v[8:11]// 0000000076A8: D3F30008 1C2215A2
	v_mfma_f32_16x16x32_fp8_fp8 v[8:11], a[164:165], a[12:13], v[8:11]// 0000000076B0: D3F30008 1C2219A4
	v_mfma_f32_16x16x32_fp8_fp8 v[8:11], a[166:167], a[14:15], v[8:11]// 0000000076B8: D3F30008 1C221DA6
	v_fma_f32 v48, v12, v4, v48                                // 0000000076C0: D1CB0030 04C2090C
	v_fma_f32 v49, v13, v4, v49                                // 0000000076C8: D1CB0031 04C6090D
	v_fma_f32 v50, v14, v4, v50                                // 0000000076D0: D1CB0032 04CA090E
	v_fma_f32 v51, v15, v4, v51                                // 0000000076D8: D1CB0033 04CE090F
	v_mfma_f32_16x16x32_fp8_fp8 v[12:15], a[168:169], a[8:9], 0// 0000000076E0: D3F3000C 1A0211A8
	buffer_load_dwordx4 a[92:95], v37, s[24:27], 0 offen offset:1024// 0000000076E8: E05C1400 80865C25
	v_mfma_f32_16x16x32_fp8_fp8 v[12:15], a[170:171], a[10:11], v[12:15]// 0000000076F0: D3F3000C 1C3215AA
	v_mfma_f32_16x16x32_fp8_fp8 v[12:15], a[172:173], a[12:13], v[12:15]// 0000000076F8: D3F3000C 1C3219AC
	v_mfma_f32_16x16x32_fp8_fp8 v[12:15], a[174:175], a[14:15], v[12:15]// 000000007700: D3F3000C 1C321DAE
	v_fma_f32 v52, v8, v6, v52                                 // 000000007708: D1CB0034 04D20D08
	v_fma_f32 v53, v9, v6, v53                                 // 000000007710: D1CB0035 04D60D09
	v_fma_f32 v54, v10, v6, v54                                // 000000007718: D1CB0036 04DA0D0A
	v_fma_f32 v55, v11, v6, v55                                // 000000007720: D1CB0037 04DE0D0B
	v_mul_f32_dpp v4, v25, v32 row_newbcast:2 row_mask:0xf bank_mask:0xf// 000000007728: 0A0840FA FF015219
	v_mfma_f32_16x16x32_fp8_fp8 v[8:11], a[176:177], a[8:9], 0 // 000000007730: D3F30008 1A0211B0
	buffer_load_dwordx4 a[96:99], v38, s[24:27], 0 offen       // 000000007738: E05C1000 80866026
	v_mfma_f32_16x16x32_fp8_fp8 v[8:11], a[178:179], a[10:11], v[8:11]// 000000007740: D3F30008 1C2215B2
	v_mfma_f32_16x16x32_fp8_fp8 v[8:11], a[180:181], a[12:13], v[8:11]// 000000007748: D3F30008 1C2219B4
	v_mfma_f32_16x16x32_fp8_fp8 v[8:11], a[182:183], a[14:15], v[8:11]// 000000007750: D3F30008 1C221DB6
	v_fma_f32 v56, v12, v6, v56                                // 000000007758: D1CB0038 04E20D0C
	v_fma_f32 v57, v13, v6, v57                                // 000000007760: D1CB0039 04E60D0D
	v_fma_f32 v58, v14, v6, v58                                // 000000007768: D1CB003A 04EA0D0E
	v_fma_f32 v59, v15, v6, v59                                // 000000007770: D1CB003B 04EE0D0F
	v_mfma_f32_16x16x32_fp8_fp8 v[12:15], a[184:185], a[8:9], 0// 000000007778: D3F3000C 1A0211B8
	buffer_load_dwordx4 a[100:103], v38, s[24:27], 0 offen offset:1024// 000000007780: E05C1400 80866426
	v_mfma_f32_16x16x32_fp8_fp8 v[12:15], a[186:187], a[10:11], v[12:15]// 000000007788: D3F3000C 1C3215BA
	v_mfma_f32_16x16x32_fp8_fp8 v[12:15], a[188:189], a[12:13], v[12:15]// 000000007790: D3F3000C 1C3219BC
	v_mfma_f32_16x16x32_fp8_fp8 v[12:15], a[190:191], a[14:15], v[12:15]// 000000007798: D3F3000C 1C321DBE
	v_fma_f32 v60, v8, v4, v60                                 // 0000000077A0: D1CB003C 04F20908
	v_fma_f32 v61, v9, v4, v61                                 // 0000000077A8: D1CB003D 04F60909
	v_fma_f32 v62, v10, v4, v62                                // 0000000077B0: D1CB003E 04FA090A
	v_fma_f32 v63, v11, v4, v63                                // 0000000077B8: D1CB003F 04FE090B
	v_mul_f32_dpp v6, v25, v32 row_newbcast:3 row_mask:0xf bank_mask:0xf// 0000000077C0: 0A0C40FA FF015319
	v_mfma_f32_16x16x32_fp8_fp8 v[8:11], a[192:193], a[8:9], 0 // 0000000077C8: D3F30008 1A0211C0
	buffer_load_dwordx4 a[104:107], v39, s[24:27], 0 offen     // 0000000077D0: E05C1000 80866827
	v_mfma_f32_16x16x32_fp8_fp8 v[8:11], a[194:195], a[10:11], v[8:11]// 0000000077D8: D3F30008 1C2215C2
	v_mfma_f32_16x16x32_fp8_fp8 v[8:11], a[196:197], a[12:13], v[8:11]// 0000000077E0: D3F30008 1C2219C4
	v_mfma_f32_16x16x32_fp8_fp8 v[8:11], a[198:199], a[14:15], v[8:11]// 0000000077E8: D3F30008 1C221DC6
	v_fma_f32 v64, v12, v4, v64                                // 0000000077F0: D1CB0040 0502090C
	v_fma_f32 v65, v13, v4, v65                                // 0000000077F8: D1CB0041 0506090D
	v_fma_f32 v66, v14, v4, v66                                // 000000007800: D1CB0042 050A090E
	v_fma_f32 v67, v15, v4, v67                                // 000000007808: D1CB0043 050E090F
	v_mfma_f32_16x16x32_fp8_fp8 v[12:15], a[200:201], a[8:9], 0// 000000007810: D3F3000C 1A0211C8
	buffer_load_dwordx4 a[108:111], v39, s[24:27], 0 offen offset:1024// 000000007818: E05C1400 80866C27
	v_mfma_f32_16x16x32_fp8_fp8 v[12:15], a[202:203], a[10:11], v[12:15]// 000000007820: D3F3000C 1C3215CA
	v_mfma_f32_16x16x32_fp8_fp8 v[12:15], a[204:205], a[12:13], v[12:15]// 000000007828: D3F3000C 1C3219CC
	v_mfma_f32_16x16x32_fp8_fp8 v[12:15], a[206:207], a[14:15], v[12:15]// 000000007830: D3F3000C 1C321DCE
	v_fma_f32 v68, v8, v6, v68                                 // 000000007838: D1CB0044 05120D08
	v_fma_f32 v69, v9, v6, v69                                 // 000000007840: D1CB0045 05160D09
	v_fma_f32 v70, v10, v6, v70                                // 000000007848: D1CB0046 051A0D0A
	v_fma_f32 v71, v11, v6, v71                                // 000000007850: D1CB0047 051E0D0B
	v_fma_f32 v72, v12, v6, v72                                // 000000007858: D1CB0048 05220D0C
	v_fma_f32 v73, v13, v6, v73                                // 000000007860: D1CB0049 05260D0D
	v_fma_f32 v74, v14, v6, v74                                // 000000007868: D1CB004A 052A0D0E
	v_fma_f32 v75, v15, v6, v75                                // 000000007870: D1CB004B 052E0D0F
	buffer_load_dwordx4 a[112:115], v40, s[24:27], 0 offen     // 000000007878: E05C1000 80867028
	buffer_load_dwordx4 a[116:119], v40, s[24:27], 0 offen offset:1024// 000000007880: E05C1400 80867428
	buffer_load_dwordx4 a[120:123], v41, s[24:27], 0 offen     // 000000007888: E05C1000 80867829
	buffer_load_dwordx4 a[124:127], v41, s[24:27], 0 offen offset:1024// 000000007890: E05C1400 80867C29
	buffer_load_dwordx4 a[128:131], v42, s[24:27], 0 offen     // 000000007898: E05C1000 8086802A
	buffer_load_dwordx4 a[132:135], v42, s[24:27], 0 offen offset:1024// 0000000078A0: E05C1400 8086842A
	buffer_load_dwordx4 a[136:139], v43, s[24:27], 0 offen     // 0000000078A8: E05C1000 8086882B
	buffer_load_dwordx4 a[140:143], v43, s[24:27], 0 offen offset:1024// 0000000078B0: E05C1400 80868C2B
	buffer_load_dword v34, s[20:23], 0 offen lds               // 0000000078B8: E0511000 80050022
	s_add_u32 m0, 0x100, s48                                   // 0000000078C0: 807C30FF 00000100
	buffer_load_dword v35, s[20:23], 0 offen lds               // 0000000078C8: E0511000 80050023
	s_add_u32 m0, 0, s49                                       // 0000000078D0: 807C3180
	buffer_load_dword v31, v30, s[28:31], 0 offen              // 0000000078D4: E0501000 80071F1E
	s_waitcnt vmcnt(20)                                        // 0000000078DC: BF8C4F74
	s_barrier                                                  // 0000000078E0: BF8A0000
	v_mul_f32_dpp v4, v28, v32 row_newbcast:0 row_mask:0xf bank_mask:0xf// 0000000078E4: 0A0840FA FF01501C
	v_mfma_f32_16x16x32_fp8_fp8 v[8:11], a[16:17], a[8:9], 0   // 0000000078EC: D3F30008 1A021110
	buffer_load_dword v29, v23, s[32:35], 0 offen              // 0000000078F4: E0501000 80081D17
	buffer_load_dwordx4 a[144:147], v36, s[84:87], 0 offen     // 0000000078FC: E05C1000 80959024
	v_mfma_f32_16x16x32_fp8_fp8 v[8:11], a[18:19], a[10:11], v[8:11]// 000000007904: D3F30008 1C221512
	v_mfma_f32_16x16x32_fp8_fp8 v[8:11], a[20:21], a[12:13], v[8:11]// 00000000790C: D3F30008 1C221914
	ds_read_b128 a[0:3], v2 offset:4352                        // 000000007914: DBFE1100 00000002
	ds_read_b128 a[4:7], v2 offset:4416                        // 00000000791C: DBFE1140 04000002
	v_mfma_f32_16x16x32_fp8_fp8 v[8:11], a[22:23], a[14:15], v[8:11]// 000000007924: D3F30008 1C221D16
	v_mfma_f32_16x16x32_fp8_fp8 v[12:15], a[24:25], a[8:9], 0  // 00000000792C: D3F3000C 1A021118
	buffer_load_dwordx4 a[148:151], v36, s[84:87], 0 offen offset:1024// 000000007934: E05C1400 80959424
	v_mfma_f32_16x16x32_fp8_fp8 v[12:15], a[26:27], a[10:11], v[12:15]// 00000000793C: D3F3000C 1C32151A
	v_mfma_f32_16x16x32_fp8_fp8 v[12:15], a[28:29], a[12:13], v[12:15]// 000000007944: D3F3000C 1C32191C
	v_mfma_f32_16x16x32_fp8_fp8 v[12:15], a[30:31], a[14:15], v[12:15]// 00000000794C: D3F3000C 1C321D1E
	v_fma_f32 v76, v8, v4, v76                                 // 000000007954: D1CB004C 05320908
	v_fma_f32 v77, v9, v4, v77                                 // 00000000795C: D1CB004D 05360909
	v_fma_f32 v78, v10, v4, v78                                // 000000007964: D1CB004E 053A090A
	v_fma_f32 v79, v11, v4, v79                                // 00000000796C: D1CB004F 053E090B
	v_mul_f32_dpp v6, v28, v32 row_newbcast:1 row_mask:0xf bank_mask:0xf// 000000007974: 0A0C40FA FF01511C
	v_mfma_f32_16x16x32_fp8_fp8 v[8:11], a[32:33], a[8:9], 0   // 00000000797C: D3F30008 1A021120
	buffer_load_dwordx4 a[152:155], v37, s[84:87], 0 offen     // 000000007984: E05C1000 80959825
	v_mfma_f32_16x16x32_fp8_fp8 v[8:11], a[34:35], a[10:11], v[8:11]// 00000000798C: D3F30008 1C221522
	v_mfma_f32_16x16x32_fp8_fp8 v[8:11], a[36:37], a[12:13], v[8:11]// 000000007994: D3F30008 1C221924
	v_mfma_f32_16x16x32_fp8_fp8 v[8:11], a[38:39], a[14:15], v[8:11]// 00000000799C: D3F30008 1C221D26
	v_fma_f32 v80, v12, v4, v80                                // 0000000079A4: D1CB0050 0542090C
	v_fma_f32 v81, v13, v4, v81                                // 0000000079AC: D1CB0051 0546090D
	v_fma_f32 v82, v14, v4, v82                                // 0000000079B4: D1CB0052 054A090E
	v_fma_f32 v83, v15, v4, v83                                // 0000000079BC: D1CB0053 054E090F
	v_mfma_f32_16x16x32_fp8_fp8 v[12:15], a[40:41], a[8:9], 0  // 0000000079C4: D3F3000C 1A021128
	buffer_load_dwordx4 a[156:159], v37, s[84:87], 0 offen offset:1024// 0000000079CC: E05C1400 80959C25
	v_mfma_f32_16x16x32_fp8_fp8 v[12:15], a[42:43], a[10:11], v[12:15]// 0000000079D4: D3F3000C 1C32152A
	v_mfma_f32_16x16x32_fp8_fp8 v[12:15], a[44:45], a[12:13], v[12:15]// 0000000079DC: D3F3000C 1C32192C
	v_mfma_f32_16x16x32_fp8_fp8 v[12:15], a[46:47], a[14:15], v[12:15]// 0000000079E4: D3F3000C 1C321D2E
	v_fma_f32 v84, v8, v6, v84                                 // 0000000079EC: D1CB0054 05520D08
	v_fma_f32 v85, v9, v6, v85                                 // 0000000079F4: D1CB0055 05560D09
	v_fma_f32 v86, v10, v6, v86                                // 0000000079FC: D1CB0056 055A0D0A
	v_fma_f32 v87, v11, v6, v87                                // 000000007A04: D1CB0057 055E0D0B
	v_mul_f32_dpp v4, v28, v32 row_newbcast:2 row_mask:0xf bank_mask:0xf// 000000007A0C: 0A0840FA FF01521C
	v_mfma_f32_16x16x32_fp8_fp8 v[8:11], a[48:49], a[8:9], 0   // 000000007A14: D3F30008 1A021130
	buffer_load_dwordx4 a[160:163], v38, s[84:87], 0 offen     // 000000007A1C: E05C1000 8095A026
	v_mfma_f32_16x16x32_fp8_fp8 v[8:11], a[50:51], a[10:11], v[8:11]// 000000007A24: D3F30008 1C221532
	v_mfma_f32_16x16x32_fp8_fp8 v[8:11], a[52:53], a[12:13], v[8:11]// 000000007A2C: D3F30008 1C221934
	v_mfma_f32_16x16x32_fp8_fp8 v[8:11], a[54:55], a[14:15], v[8:11]// 000000007A34: D3F30008 1C221D36
	v_fma_f32 v88, v12, v6, v88                                // 000000007A3C: D1CB0058 05620D0C
	v_fma_f32 v89, v13, v6, v89                                // 000000007A44: D1CB0059 05660D0D
	v_fma_f32 v90, v14, v6, v90                                // 000000007A4C: D1CB005A 056A0D0E
	v_fma_f32 v91, v15, v6, v91                                // 000000007A54: D1CB005B 056E0D0F
	v_mfma_f32_16x16x32_fp8_fp8 v[12:15], a[56:57], a[8:9], 0  // 000000007A5C: D3F3000C 1A021138
	buffer_load_dwordx4 a[164:167], v38, s[84:87], 0 offen offset:1024// 000000007A64: E05C1400 8095A426
	v_mfma_f32_16x16x32_fp8_fp8 v[12:15], a[58:59], a[10:11], v[12:15]// 000000007A6C: D3F3000C 1C32153A
	v_mfma_f32_16x16x32_fp8_fp8 v[12:15], a[60:61], a[12:13], v[12:15]// 000000007A74: D3F3000C 1C32193C
	v_mfma_f32_16x16x32_fp8_fp8 v[12:15], a[62:63], a[14:15], v[12:15]// 000000007A7C: D3F3000C 1C321D3E
	v_fma_f32 v92, v8, v4, v92                                 // 000000007A84: D1CB005C 05720908
	v_fma_f32 v93, v9, v4, v93                                 // 000000007A8C: D1CB005D 05760909
	v_fma_f32 v94, v10, v4, v94                                // 000000007A94: D1CB005E 057A090A
	v_fma_f32 v95, v11, v4, v95                                // 000000007A9C: D1CB005F 057E090B
	v_mul_f32_dpp v6, v28, v32 row_newbcast:3 row_mask:0xf bank_mask:0xf// 000000007AA4: 0A0C40FA FF01531C
	v_mfma_f32_16x16x32_fp8_fp8 v[8:11], a[64:65], a[8:9], 0   // 000000007AAC: D3F30008 1A021140
	buffer_load_dwordx4 a[168:171], v39, s[84:87], 0 offen     // 000000007AB4: E05C1000 8095A827
	s_add_u32 s60, 0x180, s80                                  // 000000007ABC: 803C50FF 00000180
	s_cmp_lt_u32 s60, s81                                      // 000000007AC4: BF0A513C
	s_cselect_b32 s57, s57, 0                                  // 000000007AC8: 85398039
	s_cselect_b32 s3, s3, 0                                    // 000000007ACC: 85038003
	v_mfma_f32_16x16x32_fp8_fp8 v[8:11], a[66:67], a[10:11], v[8:11]// 000000007AD0: D3F30008 1C221542
	s_add_u32 s60, 0x100, s80                                  // 000000007AD8: 803C50FF 00000100
	s_cmp_lt_u32 s60, s81                                      // 000000007AE0: BF0A513C
	s_cselect_b32 s58, s58, 0                                  // 000000007AE4: 853A803A
	v_mfma_f32_16x16x32_fp8_fp8 v[8:11], a[68:69], a[12:13], v[8:11]// 000000007AE8: D3F30008 1C221944
	s_add_u32 s60, 0x100, s80                                  // 000000007AF0: 803C50FF 00000100
	s_cmp_lt_u32 s60, s81                                      // 000000007AF8: BF0A513C
	s_cselect_b32 s83, s83, 0                                  // 000000007AFC: 85538053
	s_cselect_b32 s4, s4, 0                                    // 000000007B00: 85048004
	v_mfma_f32_16x16x32_fp8_fp8 v[8:11], a[70:71], a[14:15], v[8:11]// 000000007B04: D3F30008 1C221D46
	s_add_u32 s24, s58, s24                                    // 000000007B0C: 8018183A
	s_addc_u32 s25, 0, s25                                     // 000000007B10: 82191980
	v_fma_f32 v96, v12, v4, v96                                // 000000007B14: D1CB0060 0582090C
	v_fma_f32 v97, v13, v4, v97                                // 000000007B1C: D1CB0061 0586090D
	v_fma_f32 v98, v14, v4, v98                                // 000000007B24: D1CB0062 058A090E
	v_fma_f32 v99, v15, v4, v99                                // 000000007B2C: D1CB0063 058E090F
	v_mfma_f32_16x16x32_fp8_fp8 v[12:15], a[72:73], a[8:9], 0  // 000000007B34: D3F3000C 1A021148
	buffer_load_dwordx4 a[172:175], v39, s[84:87], 0 offen offset:1024// 000000007B3C: E05C1400 8095AC27
	s_add_u32 s20, s57, s20                                    // 000000007B44: 80141439
	s_addc_u32 s21, 0, s21                                     // 000000007B48: 82151580
	s_add_u32 s28, s3, s28                                     // 000000007B4C: 801C1C03
	s_addc_u32 s29, 0, s29                                     // 000000007B50: 821D1D80
	v_mfma_f32_16x16x32_fp8_fp8 v[12:15], a[74:75], a[10:11], v[12:15]// 000000007B54: D3F3000C 1C32154A
	v_mfma_f32_16x16x32_fp8_fp8 v[12:15], a[76:77], a[12:13], v[12:15]// 000000007B5C: D3F3000C 1C32194C
	s_add_u32 s32, s4, s32                                     // 000000007B64: 80202004
	s_addc_u32 s33, 0, s33                                     // 000000007B68: 82212180
	v_mfma_f32_16x16x32_fp8_fp8 v[12:15], a[78:79], a[14:15], v[12:15]// 000000007B6C: D3F3000C 1C321D4E
	v_fma_f32 v100, v8, v6, v100                               // 000000007B74: D1CB0064 05920D08
	v_fma_f32 v101, v9, v6, v101                               // 000000007B7C: D1CB0065 05960D09
	v_fma_f32 v102, v10, v6, v102                              // 000000007B84: D1CB0066 059A0D0A
	v_fma_f32 v103, v11, v6, v103                              // 000000007B8C: D1CB0067 059E0D0B
	v_fma_f32 v104, v12, v6, v104                              // 000000007B94: D1CB0068 05A20D0C
	v_fma_f32 v105, v13, v6, v105                              // 000000007B9C: D1CB0069 05A60D0D
	v_fma_f32 v106, v14, v6, v106                              // 000000007BA4: D1CB006A 05AA0D0E
	v_fma_f32 v107, v15, v6, v107                              // 000000007BAC: D1CB006B 05AE0D0F
	buffer_load_dwordx4 a[176:179], v40, s[84:87], 0 offen     // 000000007BB4: E05C1000 8095B028
	buffer_load_dwordx4 a[180:183], v40, s[84:87], 0 offen offset:1024// 000000007BBC: E05C1400 8095B428
	buffer_load_dwordx4 a[184:187], v41, s[84:87], 0 offen     // 000000007BC4: E05C1000 8095B829
	buffer_load_dwordx4 a[188:191], v41, s[84:87], 0 offen offset:1024// 000000007BCC: E05C1400 8095BC29
	buffer_load_dwordx4 a[192:195], v42, s[84:87], 0 offen     // 000000007BD4: E05C1000 8095C02A
	buffer_load_dwordx4 a[196:199], v42, s[84:87], 0 offen offset:1024// 000000007BDC: E05C1400 8095C42A
	buffer_load_dwordx4 a[200:203], v43, s[84:87], 0 offen     // 000000007BE4: E05C1000 8095C82B
	buffer_load_dwordx4 a[204:207], v43, s[84:87], 0 offen offset:1024// 000000007BEC: E05C1400 8095CC2B
	s_add_u32 s84, s83, s84                                    // 000000007BF4: 80545453
	s_addc_u32 s85, 0, s85                                     // 000000007BF8: 82555580
	s_addk_i32 s80, 0x80                                       // 000000007BFC: B7500080
	s_cmp_lt_i32 s80, s81                                      // 000000007C00: BF045150
	s_cbranch_scc0 label_1A82                                  // 000000007C04: BF8405FD
	s_waitcnt vmcnt(20) lgkmcnt(0)                             // 000000007C08: BF8C4074
	v_mul_f32_dpp v4, v26, v33 row_newbcast:0 row_mask:0xf bank_mask:0xf// 000000007C0C: 0A0842FA FF01501A
	v_mfma_f32_16x16x32_fp8_fp8 v[8:11], a[80:81], a[0:1], 0   // 000000007C14: D3F30008 1A020150
	buffer_load_dword v24, v22, s[32:35], 0 offen              // 000000007C1C: E0501000 80081816
	buffer_load_dwordx4 a[16:19], v36, s[24:27], 0 offen       // 000000007C24: E05C1000 80861024
	v_mfma_f32_16x16x32_fp8_fp8 v[8:11], a[82:83], a[2:3], v[8:11]// 000000007C2C: D3F30008 1C220552
	v_mfma_f32_16x16x32_fp8_fp8 v[8:11], a[84:85], a[4:5], v[8:11]// 000000007C34: D3F30008 1C220954
	v_mfma_f32_16x16x32_fp8_fp8 v[8:11], a[86:87], a[6:7], v[8:11]// 000000007C3C: D3F30008 1C220D56
	v_mfma_f32_16x16x32_fp8_fp8 v[12:15], a[88:89], a[0:1], 0  // 000000007C44: D3F3000C 1A020158
	buffer_load_dwordx4 a[20:23], v36, s[24:27], 0 offen offset:1024// 000000007C4C: E05C1400 80861424
	v_mfma_f32_16x16x32_fp8_fp8 v[12:15], a[90:91], a[2:3], v[12:15]// 000000007C54: D3F3000C 1C32055A
	v_mfma_f32_16x16x32_fp8_fp8 v[12:15], a[92:93], a[4:5], v[12:15]// 000000007C5C: D3F3000C 1C32095C
	v_mfma_f32_16x16x32_fp8_fp8 v[12:15], a[94:95], a[6:7], v[12:15]// 000000007C64: D3F3000C 1C320D5E
	v_fma_f32 v44, v8, v4, v44                                 // 000000007C6C: D1CB002C 04B20908
	v_fma_f32 v45, v9, v4, v45                                 // 000000007C74: D1CB002D 04B60909
	v_fma_f32 v46, v10, v4, v46                                // 000000007C7C: D1CB002E 04BA090A
	v_fma_f32 v47, v11, v4, v47                                // 000000007C84: D1CB002F 04BE090B
	v_mul_f32_dpp v6, v26, v33 row_newbcast:1 row_mask:0xf bank_mask:0xf// 000000007C8C: 0A0C42FA FF01511A
	v_mfma_f32_16x16x32_fp8_fp8 v[8:11], a[96:97], a[0:1], 0   // 000000007C94: D3F30008 1A020160
	buffer_load_dwordx4 a[24:27], v37, s[24:27], 0 offen       // 000000007C9C: E05C1000 80861825
	v_mfma_f32_16x16x32_fp8_fp8 v[8:11], a[98:99], a[2:3], v[8:11]// 000000007CA4: D3F30008 1C220562
	v_mfma_f32_16x16x32_fp8_fp8 v[8:11], a[100:101], a[4:5], v[8:11]// 000000007CAC: D3F30008 1C220964
	v_mfma_f32_16x16x32_fp8_fp8 v[8:11], a[102:103], a[6:7], v[8:11]// 000000007CB4: D3F30008 1C220D66
	v_fma_f32 v48, v12, v4, v48                                // 000000007CBC: D1CB0030 04C2090C
	v_fma_f32 v49, v13, v4, v49                                // 000000007CC4: D1CB0031 04C6090D
	v_fma_f32 v50, v14, v4, v50                                // 000000007CCC: D1CB0032 04CA090E
	v_fma_f32 v51, v15, v4, v51                                // 000000007CD4: D1CB0033 04CE090F
	v_mfma_f32_16x16x32_fp8_fp8 v[12:15], a[104:105], a[0:1], 0// 000000007CDC: D3F3000C 1A020168
	buffer_load_dwordx4 a[28:31], v37, s[24:27], 0 offen offset:1024// 000000007CE4: E05C1400 80861C25
	v_mfma_f32_16x16x32_fp8_fp8 v[12:15], a[106:107], a[2:3], v[12:15]// 000000007CEC: D3F3000C 1C32056A
	v_mfma_f32_16x16x32_fp8_fp8 v[12:15], a[108:109], a[4:5], v[12:15]// 000000007CF4: D3F3000C 1C32096C
	v_mfma_f32_16x16x32_fp8_fp8 v[12:15], a[110:111], a[6:7], v[12:15]// 000000007CFC: D3F3000C 1C320D6E
	v_fma_f32 v52, v8, v6, v52                                 // 000000007D04: D1CB0034 04D20D08
	v_fma_f32 v53, v9, v6, v53                                 // 000000007D0C: D1CB0035 04D60D09
	v_fma_f32 v54, v10, v6, v54                                // 000000007D14: D1CB0036 04DA0D0A
	v_fma_f32 v55, v11, v6, v55                                // 000000007D1C: D1CB0037 04DE0D0B
	v_mul_f32_dpp v4, v26, v33 row_newbcast:2 row_mask:0xf bank_mask:0xf// 000000007D24: 0A0842FA FF01521A
	v_mfma_f32_16x16x32_fp8_fp8 v[8:11], a[112:113], a[0:1], 0 // 000000007D2C: D3F30008 1A020170
	buffer_load_dwordx4 a[32:35], v38, s[24:27], 0 offen       // 000000007D34: E05C1000 80862026
	v_mfma_f32_16x16x32_fp8_fp8 v[8:11], a[114:115], a[2:3], v[8:11]// 000000007D3C: D3F30008 1C220572
	v_mfma_f32_16x16x32_fp8_fp8 v[8:11], a[116:117], a[4:5], v[8:11]// 000000007D44: D3F30008 1C220974
	v_mfma_f32_16x16x32_fp8_fp8 v[8:11], a[118:119], a[6:7], v[8:11]// 000000007D4C: D3F30008 1C220D76
	v_fma_f32 v56, v12, v6, v56                                // 000000007D54: D1CB0038 04E20D0C
	v_fma_f32 v57, v13, v6, v57                                // 000000007D5C: D1CB0039 04E60D0D
	v_fma_f32 v58, v14, v6, v58                                // 000000007D64: D1CB003A 04EA0D0E
	v_fma_f32 v59, v15, v6, v59                                // 000000007D6C: D1CB003B 04EE0D0F
	v_mfma_f32_16x16x32_fp8_fp8 v[12:15], a[120:121], a[0:1], 0// 000000007D74: D3F3000C 1A020178
	buffer_load_dwordx4 a[36:39], v38, s[24:27], 0 offen offset:1024// 000000007D7C: E05C1400 80862426
	v_mfma_f32_16x16x32_fp8_fp8 v[12:15], a[122:123], a[2:3], v[12:15]// 000000007D84: D3F3000C 1C32057A
	v_mfma_f32_16x16x32_fp8_fp8 v[12:15], a[124:125], a[4:5], v[12:15]// 000000007D8C: D3F3000C 1C32097C
	v_mfma_f32_16x16x32_fp8_fp8 v[12:15], a[126:127], a[6:7], v[12:15]// 000000007D94: D3F3000C 1C320D7E
	v_fma_f32 v60, v8, v4, v60                                 // 000000007D9C: D1CB003C 04F20908
	v_fma_f32 v61, v9, v4, v61                                 // 000000007DA4: D1CB003D 04F60909
	v_fma_f32 v62, v10, v4, v62                                // 000000007DAC: D1CB003E 04FA090A
	v_fma_f32 v63, v11, v4, v63                                // 000000007DB4: D1CB003F 04FE090B
	v_mul_f32_dpp v6, v26, v33 row_newbcast:3 row_mask:0xf bank_mask:0xf// 000000007DBC: 0A0C42FA FF01531A
	v_mfma_f32_16x16x32_fp8_fp8 v[8:11], a[128:129], a[0:1], 0 // 000000007DC4: D3F30008 1A020180
	buffer_load_dwordx4 a[40:43], v39, s[24:27], 0 offen       // 000000007DCC: E05C1000 80862827
	v_mfma_f32_16x16x32_fp8_fp8 v[8:11], a[130:131], a[2:3], v[8:11]// 000000007DD4: D3F30008 1C220582
	v_mfma_f32_16x16x32_fp8_fp8 v[8:11], a[132:133], a[4:5], v[8:11]// 000000007DDC: D3F30008 1C220984
	v_mfma_f32_16x16x32_fp8_fp8 v[8:11], a[134:135], a[6:7], v[8:11]// 000000007DE4: D3F30008 1C220D86
	v_fma_f32 v64, v12, v4, v64                                // 000000007DEC: D1CB0040 0502090C
	v_fma_f32 v65, v13, v4, v65                                // 000000007DF4: D1CB0041 0506090D
	v_fma_f32 v66, v14, v4, v66                                // 000000007DFC: D1CB0042 050A090E
	v_fma_f32 v67, v15, v4, v67                                // 000000007E04: D1CB0043 050E090F
	v_mfma_f32_16x16x32_fp8_fp8 v[12:15], a[136:137], a[0:1], 0// 000000007E0C: D3F3000C 1A020188
	buffer_load_dwordx4 a[44:47], v39, s[24:27], 0 offen offset:1024// 000000007E14: E05C1400 80862C27
	v_mfma_f32_16x16x32_fp8_fp8 v[12:15], a[138:139], a[2:3], v[12:15]// 000000007E1C: D3F3000C 1C32058A
	v_mfma_f32_16x16x32_fp8_fp8 v[12:15], a[140:141], a[4:5], v[12:15]// 000000007E24: D3F3000C 1C32098C
	v_mfma_f32_16x16x32_fp8_fp8 v[12:15], a[142:143], a[6:7], v[12:15]// 000000007E2C: D3F3000C 1C320D8E
	v_fma_f32 v68, v8, v6, v68                                 // 000000007E34: D1CB0044 05120D08
	v_fma_f32 v69, v9, v6, v69                                 // 000000007E3C: D1CB0045 05160D09
	v_fma_f32 v70, v10, v6, v70                                // 000000007E44: D1CB0046 051A0D0A
	v_fma_f32 v71, v11, v6, v71                                // 000000007E4C: D1CB0047 051E0D0B
	v_fma_f32 v72, v12, v6, v72                                // 000000007E54: D1CB0048 05220D0C
	v_fma_f32 v73, v13, v6, v73                                // 000000007E5C: D1CB0049 05260D0D
	v_fma_f32 v74, v14, v6, v74                                // 000000007E64: D1CB004A 052A0D0E
	v_fma_f32 v75, v15, v6, v75                                // 000000007E6C: D1CB004B 052E0D0F
	buffer_load_dwordx4 a[48:51], v40, s[24:27], 0 offen       // 000000007E74: E05C1000 80863028
	buffer_load_dwordx4 a[52:55], v40, s[24:27], 0 offen offset:1024// 000000007E7C: E05C1400 80863428
	buffer_load_dwordx4 a[56:59], v41, s[24:27], 0 offen       // 000000007E84: E05C1000 80863829
	buffer_load_dwordx4 a[60:63], v41, s[24:27], 0 offen offset:1024// 000000007E8C: E05C1400 80863C29
	buffer_load_dwordx4 a[64:67], v42, s[24:27], 0 offen       // 000000007E94: E05C1000 8086402A
	buffer_load_dwordx4 a[68:71], v42, s[24:27], 0 offen offset:1024// 000000007E9C: E05C1400 8086442A
	buffer_load_dwordx4 a[72:75], v43, s[24:27], 0 offen       // 000000007EA4: E05C1000 8086482B
	buffer_load_dwordx4 a[76:79], v43, s[24:27], 0 offen offset:1024// 000000007EAC: E05C1400 80864C2B
	buffer_load_dword v34, s[20:23], 0 offen lds               // 000000007EB4: E0511000 80050022
	s_add_u32 m0, 0x100, s49                                   // 000000007EBC: 807C31FF 00000100
	buffer_load_dword v35, s[20:23], 0 offen lds               // 000000007EC4: E0511000 80050023
	s_add_u32 m0, 0, s50                                       // 000000007ECC: 807C3280
	buffer_load_dword v32, v30, s[28:31], 0 offen              // 000000007ED0: E0501000 8007201E
	s_waitcnt vmcnt(20)                                        // 000000007ED8: BF8C4F74
	s_barrier                                                  // 000000007EDC: BF8A0000
	v_mul_f32_dpp v4, v29, v33 row_newbcast:0 row_mask:0xf bank_mask:0xf// 000000007EE0: 0A0842FA FF01501D
	v_mfma_f32_16x16x32_fp8_fp8 v[8:11], a[144:145], a[0:1], 0 // 000000007EE8: D3F30008 1A020190
	buffer_load_dword v27, v23, s[32:35], 0 offen              // 000000007EF0: E0501000 80081B17
	buffer_load_dwordx4 a[80:83], v36, s[84:87], 0 offen       // 000000007EF8: E05C1000 80955024
	v_mfma_f32_16x16x32_fp8_fp8 v[8:11], a[146:147], a[2:3], v[8:11]// 000000007F00: D3F30008 1C220592
	v_mfma_f32_16x16x32_fp8_fp8 v[8:11], a[148:149], a[4:5], v[8:11]// 000000007F08: D3F30008 1C220994
	ds_read_b128 a[8:11], v2                                   // 000000007F10: DBFE0000 08000002
	ds_read_b128 a[12:15], v2 offset:64                        // 000000007F18: DBFE0040 0C000002
	v_mfma_f32_16x16x32_fp8_fp8 v[8:11], a[150:151], a[6:7], v[8:11]// 000000007F20: D3F30008 1C220D96
	v_mfma_f32_16x16x32_fp8_fp8 v[12:15], a[152:153], a[0:1], 0// 000000007F28: D3F3000C 1A020198
	buffer_load_dwordx4 a[84:87], v36, s[84:87], 0 offen offset:1024// 000000007F30: E05C1400 80955424
	v_mfma_f32_16x16x32_fp8_fp8 v[12:15], a[154:155], a[2:3], v[12:15]// 000000007F38: D3F3000C 1C32059A
	v_mfma_f32_16x16x32_fp8_fp8 v[12:15], a[156:157], a[4:5], v[12:15]// 000000007F40: D3F3000C 1C32099C
	v_mfma_f32_16x16x32_fp8_fp8 v[12:15], a[158:159], a[6:7], v[12:15]// 000000007F48: D3F3000C 1C320D9E
	v_fma_f32 v76, v8, v4, v76                                 // 000000007F50: D1CB004C 05320908
	v_fma_f32 v77, v9, v4, v77                                 // 000000007F58: D1CB004D 05360909
	v_fma_f32 v78, v10, v4, v78                                // 000000007F60: D1CB004E 053A090A
	v_fma_f32 v79, v11, v4, v79                                // 000000007F68: D1CB004F 053E090B
	v_mul_f32_dpp v6, v29, v33 row_newbcast:1 row_mask:0xf bank_mask:0xf// 000000007F70: 0A0C42FA FF01511D
	v_mfma_f32_16x16x32_fp8_fp8 v[8:11], a[160:161], a[0:1], 0 // 000000007F78: D3F30008 1A0201A0
	buffer_load_dwordx4 a[88:91], v37, s[84:87], 0 offen       // 000000007F80: E05C1000 80955825
	v_mfma_f32_16x16x32_fp8_fp8 v[8:11], a[162:163], a[2:3], v[8:11]// 000000007F88: D3F30008 1C2205A2
	v_mfma_f32_16x16x32_fp8_fp8 v[8:11], a[164:165], a[4:5], v[8:11]// 000000007F90: D3F30008 1C2209A4
	v_mfma_f32_16x16x32_fp8_fp8 v[8:11], a[166:167], a[6:7], v[8:11]// 000000007F98: D3F30008 1C220DA6
	v_fma_f32 v80, v12, v4, v80                                // 000000007FA0: D1CB0050 0542090C
	v_fma_f32 v81, v13, v4, v81                                // 000000007FA8: D1CB0051 0546090D
	v_fma_f32 v82, v14, v4, v82                                // 000000007FB0: D1CB0052 054A090E
	v_fma_f32 v83, v15, v4, v83                                // 000000007FB8: D1CB0053 054E090F
	v_mfma_f32_16x16x32_fp8_fp8 v[12:15], a[168:169], a[0:1], 0// 000000007FC0: D3F3000C 1A0201A8
	buffer_load_dwordx4 a[92:95], v37, s[84:87], 0 offen offset:1024// 000000007FC8: E05C1400 80955C25
	v_mfma_f32_16x16x32_fp8_fp8 v[12:15], a[170:171], a[2:3], v[12:15]// 000000007FD0: D3F3000C 1C3205AA
	v_mfma_f32_16x16x32_fp8_fp8 v[12:15], a[172:173], a[4:5], v[12:15]// 000000007FD8: D3F3000C 1C3209AC
	v_mfma_f32_16x16x32_fp8_fp8 v[12:15], a[174:175], a[6:7], v[12:15]// 000000007FE0: D3F3000C 1C320DAE
	v_fma_f32 v84, v8, v6, v84                                 // 000000007FE8: D1CB0054 05520D08
	v_fma_f32 v85, v9, v6, v85                                 // 000000007FF0: D1CB0055 05560D09
	v_fma_f32 v86, v10, v6, v86                                // 000000007FF8: D1CB0056 055A0D0A
	v_fma_f32 v87, v11, v6, v87                                // 000000008000: D1CB0057 055E0D0B
	v_mul_f32_dpp v4, v29, v33 row_newbcast:2 row_mask:0xf bank_mask:0xf// 000000008008: 0A0842FA FF01521D
	v_mfma_f32_16x16x32_fp8_fp8 v[8:11], a[176:177], a[0:1], 0 // 000000008010: D3F30008 1A0201B0
	buffer_load_dwordx4 a[96:99], v38, s[84:87], 0 offen       // 000000008018: E05C1000 80956026
	v_mfma_f32_16x16x32_fp8_fp8 v[8:11], a[178:179], a[2:3], v[8:11]// 000000008020: D3F30008 1C2205B2
	v_mfma_f32_16x16x32_fp8_fp8 v[8:11], a[180:181], a[4:5], v[8:11]// 000000008028: D3F30008 1C2209B4
	v_mfma_f32_16x16x32_fp8_fp8 v[8:11], a[182:183], a[6:7], v[8:11]// 000000008030: D3F30008 1C220DB6
	v_fma_f32 v88, v12, v6, v88                                // 000000008038: D1CB0058 05620D0C
	v_fma_f32 v89, v13, v6, v89                                // 000000008040: D1CB0059 05660D0D
	v_fma_f32 v90, v14, v6, v90                                // 000000008048: D1CB005A 056A0D0E
	v_fma_f32 v91, v15, v6, v91                                // 000000008050: D1CB005B 056E0D0F
	v_mfma_f32_16x16x32_fp8_fp8 v[12:15], a[184:185], a[0:1], 0// 000000008058: D3F3000C 1A0201B8
	buffer_load_dwordx4 a[100:103], v38, s[84:87], 0 offen offset:1024// 000000008060: E05C1400 80956426
	v_mfma_f32_16x16x32_fp8_fp8 v[12:15], a[186:187], a[2:3], v[12:15]// 000000008068: D3F3000C 1C3205BA
	v_mfma_f32_16x16x32_fp8_fp8 v[12:15], a[188:189], a[4:5], v[12:15]// 000000008070: D3F3000C 1C3209BC
	v_mfma_f32_16x16x32_fp8_fp8 v[12:15], a[190:191], a[6:7], v[12:15]// 000000008078: D3F3000C 1C320DBE
	v_fma_f32 v92, v8, v4, v92                                 // 000000008080: D1CB005C 05720908
	v_fma_f32 v93, v9, v4, v93                                 // 000000008088: D1CB005D 05760909
	v_fma_f32 v94, v10, v4, v94                                // 000000008090: D1CB005E 057A090A
	v_fma_f32 v95, v11, v4, v95                                // 000000008098: D1CB005F 057E090B
	v_mul_f32_dpp v6, v29, v33 row_newbcast:3 row_mask:0xf bank_mask:0xf// 0000000080A0: 0A0C42FA FF01531D
	v_mfma_f32_16x16x32_fp8_fp8 v[8:11], a[192:193], a[0:1], 0 // 0000000080A8: D3F30008 1A0201C0
	buffer_load_dwordx4 a[104:107], v39, s[84:87], 0 offen     // 0000000080B0: E05C1000 80956827
	s_add_u32 s60, 0x180, s80                                  // 0000000080B8: 803C50FF 00000180
	s_cmp_lt_u32 s60, s81                                      // 0000000080C0: BF0A513C
	s_cselect_b32 s57, s57, 0                                  // 0000000080C4: 85398039
	s_cselect_b32 s3, s3, 0                                    // 0000000080C8: 85038003
	v_mfma_f32_16x16x32_fp8_fp8 v[8:11], a[194:195], a[2:3], v[8:11]// 0000000080CC: D3F30008 1C2205C2
	s_add_u32 s60, 0x100, s80                                  // 0000000080D4: 803C50FF 00000100
	s_cmp_lt_u32 s60, s81                                      // 0000000080DC: BF0A513C
	s_cselect_b32 s58, s58, 0                                  // 0000000080E0: 853A803A
	v_mfma_f32_16x16x32_fp8_fp8 v[8:11], a[196:197], a[4:5], v[8:11]// 0000000080E4: D3F30008 1C2209C4
	s_add_u32 s60, 0x100, s80                                  // 0000000080EC: 803C50FF 00000100
	s_cmp_lt_u32 s60, s81                                      // 0000000080F4: BF0A513C
	s_cselect_b32 s83, s83, 0                                  // 0000000080F8: 85538053
	s_cselect_b32 s4, s4, 0                                    // 0000000080FC: 85048004
	v_mfma_f32_16x16x32_fp8_fp8 v[8:11], a[198:199], a[6:7], v[8:11]// 000000008100: D3F30008 1C220DC6
	s_add_u32 s24, s58, s24                                    // 000000008108: 8018183A
	s_addc_u32 s25, 0, s25                                     // 00000000810C: 82191980
	v_fma_f32 v96, v12, v4, v96                                // 000000008110: D1CB0060 0582090C
	v_fma_f32 v97, v13, v4, v97                                // 000000008118: D1CB0061 0586090D
	v_fma_f32 v98, v14, v4, v98                                // 000000008120: D1CB0062 058A090E
	v_fma_f32 v99, v15, v4, v99                                // 000000008128: D1CB0063 058E090F
	v_mfma_f32_16x16x32_fp8_fp8 v[12:15], a[200:201], a[0:1], 0// 000000008130: D3F3000C 1A0201C8
	buffer_load_dwordx4 a[108:111], v39, s[84:87], 0 offen offset:1024// 000000008138: E05C1400 80956C27
	s_add_u32 s20, s57, s20                                    // 000000008140: 80141439
	s_addc_u32 s21, 0, s21                                     // 000000008144: 82151580
	s_add_u32 s28, s3, s28                                     // 000000008148: 801C1C03
	s_addc_u32 s29, 0, s29                                     // 00000000814C: 821D1D80
	v_mfma_f32_16x16x32_fp8_fp8 v[12:15], a[202:203], a[2:3], v[12:15]// 000000008150: D3F3000C 1C3205CA
	v_mfma_f32_16x16x32_fp8_fp8 v[12:15], a[204:205], a[4:5], v[12:15]// 000000008158: D3F3000C 1C3209CC
	s_add_u32 s32, s4, s32                                     // 000000008160: 80202004
	s_addc_u32 s33, 0, s33                                     // 000000008164: 82212180
	v_mfma_f32_16x16x32_fp8_fp8 v[12:15], a[206:207], a[6:7], v[12:15]// 000000008168: D3F3000C 1C320DCE
	v_fma_f32 v100, v8, v6, v100                               // 000000008170: D1CB0064 05920D08
	v_fma_f32 v101, v9, v6, v101                               // 000000008178: D1CB0065 05960D09
	v_fma_f32 v102, v10, v6, v102                              // 000000008180: D1CB0066 059A0D0A
	v_fma_f32 v103, v11, v6, v103                              // 000000008188: D1CB0067 059E0D0B
	v_fma_f32 v104, v12, v6, v104                              // 000000008190: D1CB0068 05A20D0C
	v_fma_f32 v105, v13, v6, v105                              // 000000008198: D1CB0069 05A60D0D
	v_fma_f32 v106, v14, v6, v106                              // 0000000081A0: D1CB006A 05AA0D0E
	v_fma_f32 v107, v15, v6, v107                              // 0000000081A8: D1CB006B 05AE0D0F
	buffer_load_dwordx4 a[112:115], v40, s[84:87], 0 offen     // 0000000081B0: E05C1000 80957028
	buffer_load_dwordx4 a[116:119], v40, s[84:87], 0 offen offset:1024// 0000000081B8: E05C1400 80957428
	buffer_load_dwordx4 a[120:123], v41, s[84:87], 0 offen     // 0000000081C0: E05C1000 80957829
	buffer_load_dwordx4 a[124:127], v41, s[84:87], 0 offen offset:1024// 0000000081C8: E05C1400 80957C29
	buffer_load_dwordx4 a[128:131], v42, s[84:87], 0 offen     // 0000000081D0: E05C1000 8095802A
	buffer_load_dwordx4 a[132:135], v42, s[84:87], 0 offen offset:1024// 0000000081D8: E05C1400 8095842A
	buffer_load_dwordx4 a[136:139], v43, s[84:87], 0 offen     // 0000000081E0: E05C1000 8095882B
	buffer_load_dwordx4 a[140:143], v43, s[84:87], 0 offen offset:1024// 0000000081E8: E05C1400 80958C2B
	s_add_u32 s84, s83, s84                                    // 0000000081F0: 80545453
	s_addc_u32 s85, 0, s85                                     // 0000000081F4: 82555580
	s_addk_i32 s80, 0x80                                       // 0000000081F8: B7500080
	s_cmp_lt_i32 s80, s81                                      // 0000000081FC: BF045150
	s_cbranch_scc0 label_1A82                                  // 000000008200: BF84047E
	s_waitcnt vmcnt(20) lgkmcnt(0)                             // 000000008204: BF8C4074
	v_mul_f32_dpp v4, v24, v31 row_newbcast:0 row_mask:0xf bank_mask:0xf// 000000008208: 0A083EFA FF015018
	v_mfma_f32_16x16x32_fp8_fp8 v[8:11], a[16:17], a[8:9], 0   // 000000008210: D3F30008 1A021110
	buffer_load_dword v25, v22, s[32:35], 0 offen              // 000000008218: E0501000 80081916
	buffer_load_dwordx4 a[144:147], v36, s[24:27], 0 offen     // 000000008220: E05C1000 80869024
	v_mfma_f32_16x16x32_fp8_fp8 v[8:11], a[18:19], a[10:11], v[8:11]// 000000008228: D3F30008 1C221512
	v_mfma_f32_16x16x32_fp8_fp8 v[8:11], a[20:21], a[12:13], v[8:11]// 000000008230: D3F30008 1C221914
	v_mfma_f32_16x16x32_fp8_fp8 v[8:11], a[22:23], a[14:15], v[8:11]// 000000008238: D3F30008 1C221D16
	v_mfma_f32_16x16x32_fp8_fp8 v[12:15], a[24:25], a[8:9], 0  // 000000008240: D3F3000C 1A021118
	buffer_load_dwordx4 a[148:151], v36, s[24:27], 0 offen offset:1024// 000000008248: E05C1400 80869424
	v_mfma_f32_16x16x32_fp8_fp8 v[12:15], a[26:27], a[10:11], v[12:15]// 000000008250: D3F3000C 1C32151A
	v_mfma_f32_16x16x32_fp8_fp8 v[12:15], a[28:29], a[12:13], v[12:15]// 000000008258: D3F3000C 1C32191C
	v_mfma_f32_16x16x32_fp8_fp8 v[12:15], a[30:31], a[14:15], v[12:15]// 000000008260: D3F3000C 1C321D1E
	v_fma_f32 v44, v8, v4, v44                                 // 000000008268: D1CB002C 04B20908
	v_fma_f32 v45, v9, v4, v45                                 // 000000008270: D1CB002D 04B60909
	v_fma_f32 v46, v10, v4, v46                                // 000000008278: D1CB002E 04BA090A
	v_fma_f32 v47, v11, v4, v47                                // 000000008280: D1CB002F 04BE090B
	v_mul_f32_dpp v6, v24, v31 row_newbcast:1 row_mask:0xf bank_mask:0xf// 000000008288: 0A0C3EFA FF015118
	v_mfma_f32_16x16x32_fp8_fp8 v[8:11], a[32:33], a[8:9], 0   // 000000008290: D3F30008 1A021120
	buffer_load_dwordx4 a[152:155], v37, s[24:27], 0 offen     // 000000008298: E05C1000 80869825
	v_mfma_f32_16x16x32_fp8_fp8 v[8:11], a[34:35], a[10:11], v[8:11]// 0000000082A0: D3F30008 1C221522
	v_mfma_f32_16x16x32_fp8_fp8 v[8:11], a[36:37], a[12:13], v[8:11]// 0000000082A8: D3F30008 1C221924
	v_mfma_f32_16x16x32_fp8_fp8 v[8:11], a[38:39], a[14:15], v[8:11]// 0000000082B0: D3F30008 1C221D26
	v_fma_f32 v48, v12, v4, v48                                // 0000000082B8: D1CB0030 04C2090C
	v_fma_f32 v49, v13, v4, v49                                // 0000000082C0: D1CB0031 04C6090D
	v_fma_f32 v50, v14, v4, v50                                // 0000000082C8: D1CB0032 04CA090E
	v_fma_f32 v51, v15, v4, v51                                // 0000000082D0: D1CB0033 04CE090F
	v_mfma_f32_16x16x32_fp8_fp8 v[12:15], a[40:41], a[8:9], 0  // 0000000082D8: D3F3000C 1A021128
	buffer_load_dwordx4 a[156:159], v37, s[24:27], 0 offen offset:1024// 0000000082E0: E05C1400 80869C25
	v_mfma_f32_16x16x32_fp8_fp8 v[12:15], a[42:43], a[10:11], v[12:15]// 0000000082E8: D3F3000C 1C32152A
	v_mfma_f32_16x16x32_fp8_fp8 v[12:15], a[44:45], a[12:13], v[12:15]// 0000000082F0: D3F3000C 1C32192C
	v_mfma_f32_16x16x32_fp8_fp8 v[12:15], a[46:47], a[14:15], v[12:15]// 0000000082F8: D3F3000C 1C321D2E
	v_fma_f32 v52, v8, v6, v52                                 // 000000008300: D1CB0034 04D20D08
	v_fma_f32 v53, v9, v6, v53                                 // 000000008308: D1CB0035 04D60D09
	v_fma_f32 v54, v10, v6, v54                                // 000000008310: D1CB0036 04DA0D0A
	v_fma_f32 v55, v11, v6, v55                                // 000000008318: D1CB0037 04DE0D0B
	v_mul_f32_dpp v4, v24, v31 row_newbcast:2 row_mask:0xf bank_mask:0xf// 000000008320: 0A083EFA FF015218
	v_mfma_f32_16x16x32_fp8_fp8 v[8:11], a[48:49], a[8:9], 0   // 000000008328: D3F30008 1A021130
	buffer_load_dwordx4 a[160:163], v38, s[24:27], 0 offen     // 000000008330: E05C1000 8086A026
	v_mfma_f32_16x16x32_fp8_fp8 v[8:11], a[50:51], a[10:11], v[8:11]// 000000008338: D3F30008 1C221532
	v_mfma_f32_16x16x32_fp8_fp8 v[8:11], a[52:53], a[12:13], v[8:11]// 000000008340: D3F30008 1C221934
	v_mfma_f32_16x16x32_fp8_fp8 v[8:11], a[54:55], a[14:15], v[8:11]// 000000008348: D3F30008 1C221D36
	v_fma_f32 v56, v12, v6, v56                                // 000000008350: D1CB0038 04E20D0C
	v_fma_f32 v57, v13, v6, v57                                // 000000008358: D1CB0039 04E60D0D
	v_fma_f32 v58, v14, v6, v58                                // 000000008360: D1CB003A 04EA0D0E
	v_fma_f32 v59, v15, v6, v59                                // 000000008368: D1CB003B 04EE0D0F
	v_mfma_f32_16x16x32_fp8_fp8 v[12:15], a[56:57], a[8:9], 0  // 000000008370: D3F3000C 1A021138
	buffer_load_dwordx4 a[164:167], v38, s[24:27], 0 offen offset:1024// 000000008378: E05C1400 8086A426
	v_mfma_f32_16x16x32_fp8_fp8 v[12:15], a[58:59], a[10:11], v[12:15]// 000000008380: D3F3000C 1C32153A
	v_mfma_f32_16x16x32_fp8_fp8 v[12:15], a[60:61], a[12:13], v[12:15]// 000000008388: D3F3000C 1C32193C
	v_mfma_f32_16x16x32_fp8_fp8 v[12:15], a[62:63], a[14:15], v[12:15]// 000000008390: D3F3000C 1C321D3E
	v_fma_f32 v60, v8, v4, v60                                 // 000000008398: D1CB003C 04F20908
	v_fma_f32 v61, v9, v4, v61                                 // 0000000083A0: D1CB003D 04F60909
	v_fma_f32 v62, v10, v4, v62                                // 0000000083A8: D1CB003E 04FA090A
	v_fma_f32 v63, v11, v4, v63                                // 0000000083B0: D1CB003F 04FE090B
	v_mul_f32_dpp v6, v24, v31 row_newbcast:3 row_mask:0xf bank_mask:0xf// 0000000083B8: 0A0C3EFA FF015318
	v_mfma_f32_16x16x32_fp8_fp8 v[8:11], a[64:65], a[8:9], 0   // 0000000083C0: D3F30008 1A021140
	buffer_load_dwordx4 a[168:171], v39, s[24:27], 0 offen     // 0000000083C8: E05C1000 8086A827
	v_mfma_f32_16x16x32_fp8_fp8 v[8:11], a[66:67], a[10:11], v[8:11]// 0000000083D0: D3F30008 1C221542
	v_mfma_f32_16x16x32_fp8_fp8 v[8:11], a[68:69], a[12:13], v[8:11]// 0000000083D8: D3F30008 1C221944
	v_mfma_f32_16x16x32_fp8_fp8 v[8:11], a[70:71], a[14:15], v[8:11]// 0000000083E0: D3F30008 1C221D46
	v_fma_f32 v64, v12, v4, v64                                // 0000000083E8: D1CB0040 0502090C
	v_fma_f32 v65, v13, v4, v65                                // 0000000083F0: D1CB0041 0506090D
	v_fma_f32 v66, v14, v4, v66                                // 0000000083F8: D1CB0042 050A090E
	v_fma_f32 v67, v15, v4, v67                                // 000000008400: D1CB0043 050E090F
	v_mfma_f32_16x16x32_fp8_fp8 v[12:15], a[72:73], a[8:9], 0  // 000000008408: D3F3000C 1A021148
	buffer_load_dwordx4 a[172:175], v39, s[24:27], 0 offen offset:1024// 000000008410: E05C1400 8086AC27
	v_mfma_f32_16x16x32_fp8_fp8 v[12:15], a[74:75], a[10:11], v[12:15]// 000000008418: D3F3000C 1C32154A
	v_mfma_f32_16x16x32_fp8_fp8 v[12:15], a[76:77], a[12:13], v[12:15]// 000000008420: D3F3000C 1C32194C
	v_mfma_f32_16x16x32_fp8_fp8 v[12:15], a[78:79], a[14:15], v[12:15]// 000000008428: D3F3000C 1C321D4E
	v_fma_f32 v68, v8, v6, v68                                 // 000000008430: D1CB0044 05120D08
	v_fma_f32 v69, v9, v6, v69                                 // 000000008438: D1CB0045 05160D09
	v_fma_f32 v70, v10, v6, v70                                // 000000008440: D1CB0046 051A0D0A
	v_fma_f32 v71, v11, v6, v71                                // 000000008448: D1CB0047 051E0D0B
	v_fma_f32 v72, v12, v6, v72                                // 000000008450: D1CB0048 05220D0C
	v_fma_f32 v73, v13, v6, v73                                // 000000008458: D1CB0049 05260D0D
	v_fma_f32 v74, v14, v6, v74                                // 000000008460: D1CB004A 052A0D0E
	v_fma_f32 v75, v15, v6, v75                                // 000000008468: D1CB004B 052E0D0F
	buffer_load_dwordx4 a[176:179], v40, s[24:27], 0 offen     // 000000008470: E05C1000 8086B028
	buffer_load_dwordx4 a[180:183], v40, s[24:27], 0 offen offset:1024// 000000008478: E05C1400 8086B428
	buffer_load_dwordx4 a[184:187], v41, s[24:27], 0 offen     // 000000008480: E05C1000 8086B829
	buffer_load_dwordx4 a[188:191], v41, s[24:27], 0 offen offset:1024// 000000008488: E05C1400 8086BC29
	buffer_load_dwordx4 a[192:195], v42, s[24:27], 0 offen     // 000000008490: E05C1000 8086C02A
	buffer_load_dwordx4 a[196:199], v42, s[24:27], 0 offen offset:1024// 000000008498: E05C1400 8086C42A
	buffer_load_dwordx4 a[200:203], v43, s[24:27], 0 offen     // 0000000084A0: E05C1000 8086C82B
	buffer_load_dwordx4 a[204:207], v43, s[24:27], 0 offen offset:1024// 0000000084A8: E05C1400 8086CC2B
	buffer_load_dword v34, s[20:23], 0 offen lds               // 0000000084B0: E0511000 80050022
	s_add_u32 m0, 0x100, s50                                   // 0000000084B8: 807C32FF 00000100
	buffer_load_dword v35, s[20:23], 0 offen lds               // 0000000084C0: E0511000 80050023
	s_add_u32 m0, 0, s48                                       // 0000000084C8: 807C3080
	buffer_load_dword v33, v30, s[28:31], 0 offen              // 0000000084CC: E0501000 8007211E
	s_waitcnt vmcnt(20)                                        // 0000000084D4: BF8C4F74
	s_barrier                                                  // 0000000084D8: BF8A0000
	v_mul_f32_dpp v4, v27, v31 row_newbcast:0 row_mask:0xf bank_mask:0xf// 0000000084DC: 0A083EFA FF01501B
	v_mfma_f32_16x16x32_fp8_fp8 v[8:11], a[80:81], a[8:9], 0   // 0000000084E4: D3F30008 1A021150
	buffer_load_dword v28, v23, s[32:35], 0 offen              // 0000000084EC: E0501000 80081C17
	buffer_load_dwordx4 a[16:19], v36, s[84:87], 0 offen       // 0000000084F4: E05C1000 80951024
	v_mfma_f32_16x16x32_fp8_fp8 v[8:11], a[82:83], a[10:11], v[8:11]// 0000000084FC: D3F30008 1C221552
	v_mfma_f32_16x16x32_fp8_fp8 v[8:11], a[84:85], a[12:13], v[8:11]// 000000008504: D3F30008 1C221954
	ds_read_b128 a[0:3], v2 offset:2176                        // 00000000850C: DBFE0880 00000002
	ds_read_b128 a[4:7], v2 offset:2240                        // 000000008514: DBFE08C0 04000002
	v_mfma_f32_16x16x32_fp8_fp8 v[8:11], a[86:87], a[14:15], v[8:11]// 00000000851C: D3F30008 1C221D56
	v_mfma_f32_16x16x32_fp8_fp8 v[12:15], a[88:89], a[8:9], 0  // 000000008524: D3F3000C 1A021158
	buffer_load_dwordx4 a[20:23], v36, s[84:87], 0 offen offset:1024// 00000000852C: E05C1400 80951424
	v_mfma_f32_16x16x32_fp8_fp8 v[12:15], a[90:91], a[10:11], v[12:15]// 000000008534: D3F3000C 1C32155A
	v_mfma_f32_16x16x32_fp8_fp8 v[12:15], a[92:93], a[12:13], v[12:15]// 00000000853C: D3F3000C 1C32195C
	v_mfma_f32_16x16x32_fp8_fp8 v[12:15], a[94:95], a[14:15], v[12:15]// 000000008544: D3F3000C 1C321D5E
	v_fma_f32 v76, v8, v4, v76                                 // 00000000854C: D1CB004C 05320908
	v_fma_f32 v77, v9, v4, v77                                 // 000000008554: D1CB004D 05360909
	v_fma_f32 v78, v10, v4, v78                                // 00000000855C: D1CB004E 053A090A
	v_fma_f32 v79, v11, v4, v79                                // 000000008564: D1CB004F 053E090B
	v_mul_f32_dpp v6, v27, v31 row_newbcast:1 row_mask:0xf bank_mask:0xf// 00000000856C: 0A0C3EFA FF01511B
	v_mfma_f32_16x16x32_fp8_fp8 v[8:11], a[96:97], a[8:9], 0   // 000000008574: D3F30008 1A021160
	buffer_load_dwordx4 a[24:27], v37, s[84:87], 0 offen       // 00000000857C: E05C1000 80951825
	v_mfma_f32_16x16x32_fp8_fp8 v[8:11], a[98:99], a[10:11], v[8:11]// 000000008584: D3F30008 1C221562
	v_mfma_f32_16x16x32_fp8_fp8 v[8:11], a[100:101], a[12:13], v[8:11]// 00000000858C: D3F30008 1C221964
	v_mfma_f32_16x16x32_fp8_fp8 v[8:11], a[102:103], a[14:15], v[8:11]// 000000008594: D3F30008 1C221D66
	v_fma_f32 v80, v12, v4, v80                                // 00000000859C: D1CB0050 0542090C
	v_fma_f32 v81, v13, v4, v81                                // 0000000085A4: D1CB0051 0546090D
	v_fma_f32 v82, v14, v4, v82                                // 0000000085AC: D1CB0052 054A090E
	v_fma_f32 v83, v15, v4, v83                                // 0000000085B4: D1CB0053 054E090F
	v_mfma_f32_16x16x32_fp8_fp8 v[12:15], a[104:105], a[8:9], 0// 0000000085BC: D3F3000C 1A021168
	buffer_load_dwordx4 a[28:31], v37, s[84:87], 0 offen offset:1024// 0000000085C4: E05C1400 80951C25
	v_mfma_f32_16x16x32_fp8_fp8 v[12:15], a[106:107], a[10:11], v[12:15]// 0000000085CC: D3F3000C 1C32156A
	v_mfma_f32_16x16x32_fp8_fp8 v[12:15], a[108:109], a[12:13], v[12:15]// 0000000085D4: D3F3000C 1C32196C
	v_mfma_f32_16x16x32_fp8_fp8 v[12:15], a[110:111], a[14:15], v[12:15]// 0000000085DC: D3F3000C 1C321D6E
	v_fma_f32 v84, v8, v6, v84                                 // 0000000085E4: D1CB0054 05520D08
	v_fma_f32 v85, v9, v6, v85                                 // 0000000085EC: D1CB0055 05560D09
	v_fma_f32 v86, v10, v6, v86                                // 0000000085F4: D1CB0056 055A0D0A
	v_fma_f32 v87, v11, v6, v87                                // 0000000085FC: D1CB0057 055E0D0B
	v_mul_f32_dpp v4, v27, v31 row_newbcast:2 row_mask:0xf bank_mask:0xf// 000000008604: 0A083EFA FF01521B
	v_mfma_f32_16x16x32_fp8_fp8 v[8:11], a[112:113], a[8:9], 0 // 00000000860C: D3F30008 1A021170
	buffer_load_dwordx4 a[32:35], v38, s[84:87], 0 offen       // 000000008614: E05C1000 80952026
	v_mfma_f32_16x16x32_fp8_fp8 v[8:11], a[114:115], a[10:11], v[8:11]// 00000000861C: D3F30008 1C221572
	v_mfma_f32_16x16x32_fp8_fp8 v[8:11], a[116:117], a[12:13], v[8:11]// 000000008624: D3F30008 1C221974
	v_mfma_f32_16x16x32_fp8_fp8 v[8:11], a[118:119], a[14:15], v[8:11]// 00000000862C: D3F30008 1C221D76
	v_fma_f32 v88, v12, v6, v88                                // 000000008634: D1CB0058 05620D0C
	v_fma_f32 v89, v13, v6, v89                                // 00000000863C: D1CB0059 05660D0D
	v_fma_f32 v90, v14, v6, v90                                // 000000008644: D1CB005A 056A0D0E
	v_fma_f32 v91, v15, v6, v91                                // 00000000864C: D1CB005B 056E0D0F
	v_mfma_f32_16x16x32_fp8_fp8 v[12:15], a[120:121], a[8:9], 0// 000000008654: D3F3000C 1A021178
	buffer_load_dwordx4 a[36:39], v38, s[84:87], 0 offen offset:1024// 00000000865C: E05C1400 80952426
	v_mfma_f32_16x16x32_fp8_fp8 v[12:15], a[122:123], a[10:11], v[12:15]// 000000008664: D3F3000C 1C32157A
	v_mfma_f32_16x16x32_fp8_fp8 v[12:15], a[124:125], a[12:13], v[12:15]// 00000000866C: D3F3000C 1C32197C
	v_mfma_f32_16x16x32_fp8_fp8 v[12:15], a[126:127], a[14:15], v[12:15]// 000000008674: D3F3000C 1C321D7E
	v_fma_f32 v92, v8, v4, v92                                 // 00000000867C: D1CB005C 05720908
	v_fma_f32 v93, v9, v4, v93                                 // 000000008684: D1CB005D 05760909
	v_fma_f32 v94, v10, v4, v94                                // 00000000868C: D1CB005E 057A090A
	v_fma_f32 v95, v11, v4, v95                                // 000000008694: D1CB005F 057E090B
	v_mul_f32_dpp v6, v27, v31 row_newbcast:3 row_mask:0xf bank_mask:0xf// 00000000869C: 0A0C3EFA FF01531B
	v_mfma_f32_16x16x32_fp8_fp8 v[8:11], a[128:129], a[8:9], 0 // 0000000086A4: D3F30008 1A021180
	buffer_load_dwordx4 a[40:43], v39, s[84:87], 0 offen       // 0000000086AC: E05C1000 80952827
	s_add_u32 s60, 0x180, s80                                  // 0000000086B4: 803C50FF 00000180
	s_cmp_lt_u32 s60, s81                                      // 0000000086BC: BF0A513C
	s_cselect_b32 s57, s57, 0                                  // 0000000086C0: 85398039
	s_cselect_b32 s3, s3, 0                                    // 0000000086C4: 85038003
	v_mfma_f32_16x16x32_fp8_fp8 v[8:11], a[130:131], a[10:11], v[8:11]// 0000000086C8: D3F30008 1C221582
	s_add_u32 s60, 0x100, s80                                  // 0000000086D0: 803C50FF 00000100
	s_cmp_lt_u32 s60, s81                                      // 0000000086D8: BF0A513C
	s_cselect_b32 s58, s58, 0                                  // 0000000086DC: 853A803A
	v_mfma_f32_16x16x32_fp8_fp8 v[8:11], a[132:133], a[12:13], v[8:11]// 0000000086E0: D3F30008 1C221984
	s_add_u32 s60, 0x100, s80                                  // 0000000086E8: 803C50FF 00000100
	s_cmp_lt_u32 s60, s81                                      // 0000000086F0: BF0A513C
	s_cselect_b32 s83, s83, 0                                  // 0000000086F4: 85538053
	s_cselect_b32 s4, s4, 0                                    // 0000000086F8: 85048004
	v_mfma_f32_16x16x32_fp8_fp8 v[8:11], a[134:135], a[14:15], v[8:11]// 0000000086FC: D3F30008 1C221D86
	s_add_u32 s24, s58, s24                                    // 000000008704: 8018183A
	s_addc_u32 s25, 0, s25                                     // 000000008708: 82191980
	v_fma_f32 v96, v12, v4, v96                                // 00000000870C: D1CB0060 0582090C
	v_fma_f32 v97, v13, v4, v97                                // 000000008714: D1CB0061 0586090D
	v_fma_f32 v98, v14, v4, v98                                // 00000000871C: D1CB0062 058A090E
	v_fma_f32 v99, v15, v4, v99                                // 000000008724: D1CB0063 058E090F
	v_mfma_f32_16x16x32_fp8_fp8 v[12:15], a[136:137], a[8:9], 0// 00000000872C: D3F3000C 1A021188
	buffer_load_dwordx4 a[44:47], v39, s[84:87], 0 offen offset:1024// 000000008734: E05C1400 80952C27
	s_add_u32 s20, s57, s20                                    // 00000000873C: 80141439
	s_addc_u32 s21, 0, s21                                     // 000000008740: 82151580
	s_add_u32 s28, s3, s28                                     // 000000008744: 801C1C03
	s_addc_u32 s29, 0, s29                                     // 000000008748: 821D1D80
	v_mfma_f32_16x16x32_fp8_fp8 v[12:15], a[138:139], a[10:11], v[12:15]// 00000000874C: D3F3000C 1C32158A
	v_mfma_f32_16x16x32_fp8_fp8 v[12:15], a[140:141], a[12:13], v[12:15]// 000000008754: D3F3000C 1C32198C
	s_add_u32 s32, s4, s32                                     // 00000000875C: 80202004
	s_addc_u32 s33, 0, s33                                     // 000000008760: 82212180
	v_mfma_f32_16x16x32_fp8_fp8 v[12:15], a[142:143], a[14:15], v[12:15]// 000000008764: D3F3000C 1C321D8E
	v_fma_f32 v100, v8, v6, v100                               // 00000000876C: D1CB0064 05920D08
	v_fma_f32 v101, v9, v6, v101                               // 000000008774: D1CB0065 05960D09
	v_fma_f32 v102, v10, v6, v102                              // 00000000877C: D1CB0066 059A0D0A
	v_fma_f32 v103, v11, v6, v103                              // 000000008784: D1CB0067 059E0D0B
	v_fma_f32 v104, v12, v6, v104                              // 00000000878C: D1CB0068 05A20D0C
	v_fma_f32 v105, v13, v6, v105                              // 000000008794: D1CB0069 05A60D0D
	v_fma_f32 v106, v14, v6, v106                              // 00000000879C: D1CB006A 05AA0D0E
	v_fma_f32 v107, v15, v6, v107                              // 0000000087A4: D1CB006B 05AE0D0F
	buffer_load_dwordx4 a[48:51], v40, s[84:87], 0 offen       // 0000000087AC: E05C1000 80953028
	buffer_load_dwordx4 a[52:55], v40, s[84:87], 0 offen offset:1024// 0000000087B4: E05C1400 80953428
	buffer_load_dwordx4 a[56:59], v41, s[84:87], 0 offen       // 0000000087BC: E05C1000 80953829
	buffer_load_dwordx4 a[60:63], v41, s[84:87], 0 offen offset:1024// 0000000087C4: E05C1400 80953C29
	buffer_load_dwordx4 a[64:67], v42, s[84:87], 0 offen       // 0000000087CC: E05C1000 8095402A
	buffer_load_dwordx4 a[68:71], v42, s[84:87], 0 offen offset:1024// 0000000087D4: E05C1400 8095442A
	buffer_load_dwordx4 a[72:75], v43, s[84:87], 0 offen       // 0000000087DC: E05C1000 8095482B
	buffer_load_dwordx4 a[76:79], v43, s[84:87], 0 offen offset:1024// 0000000087E4: E05C1400 80954C2B
	s_add_u32 s84, s83, s84                                    // 0000000087EC: 80545453
	s_addc_u32 s85, 0, s85                                     // 0000000087F0: 82555580
	s_addk_i32 s80, 0x80                                       // 0000000087F4: B7500080
	s_cmp_lt_i32 s80, s81                                      // 0000000087F8: BF045150
	s_cbranch_scc0 label_1A82                                  // 0000000087FC: BF8402FF
	s_waitcnt vmcnt(20) lgkmcnt(0)                             // 000000008800: BF8C4074
	v_mul_f32_dpp v4, v25, v32 row_newbcast:0 row_mask:0xf bank_mask:0xf// 000000008804: 0A0840FA FF015019
	v_mfma_f32_16x16x32_fp8_fp8 v[8:11], a[144:145], a[0:1], 0 // 00000000880C: D3F30008 1A020190
	buffer_load_dword v26, v22, s[32:35], 0 offen              // 000000008814: E0501000 80081A16
	buffer_load_dwordx4 a[80:83], v36, s[24:27], 0 offen       // 00000000881C: E05C1000 80865024
	v_mfma_f32_16x16x32_fp8_fp8 v[8:11], a[146:147], a[2:3], v[8:11]// 000000008824: D3F30008 1C220592
	v_mfma_f32_16x16x32_fp8_fp8 v[8:11], a[148:149], a[4:5], v[8:11]// 00000000882C: D3F30008 1C220994
	v_mfma_f32_16x16x32_fp8_fp8 v[8:11], a[150:151], a[6:7], v[8:11]// 000000008834: D3F30008 1C220D96
	v_mfma_f32_16x16x32_fp8_fp8 v[12:15], a[152:153], a[0:1], 0// 00000000883C: D3F3000C 1A020198
	buffer_load_dwordx4 a[84:87], v36, s[24:27], 0 offen offset:1024// 000000008844: E05C1400 80865424
	v_mfma_f32_16x16x32_fp8_fp8 v[12:15], a[154:155], a[2:3], v[12:15]// 00000000884C: D3F3000C 1C32059A
	v_mfma_f32_16x16x32_fp8_fp8 v[12:15], a[156:157], a[4:5], v[12:15]// 000000008854: D3F3000C 1C32099C
	v_mfma_f32_16x16x32_fp8_fp8 v[12:15], a[158:159], a[6:7], v[12:15]// 00000000885C: D3F3000C 1C320D9E
	v_fma_f32 v44, v8, v4, v44                                 // 000000008864: D1CB002C 04B20908
	v_fma_f32 v45, v9, v4, v45                                 // 00000000886C: D1CB002D 04B60909
	v_fma_f32 v46, v10, v4, v46                                // 000000008874: D1CB002E 04BA090A
	v_fma_f32 v47, v11, v4, v47                                // 00000000887C: D1CB002F 04BE090B
	v_mul_f32_dpp v6, v25, v32 row_newbcast:1 row_mask:0xf bank_mask:0xf// 000000008884: 0A0C40FA FF015119
	v_mfma_f32_16x16x32_fp8_fp8 v[8:11], a[160:161], a[0:1], 0 // 00000000888C: D3F30008 1A0201A0
	buffer_load_dwordx4 a[88:91], v37, s[24:27], 0 offen       // 000000008894: E05C1000 80865825
	v_mfma_f32_16x16x32_fp8_fp8 v[8:11], a[162:163], a[2:3], v[8:11]// 00000000889C: D3F30008 1C2205A2
	v_mfma_f32_16x16x32_fp8_fp8 v[8:11], a[164:165], a[4:5], v[8:11]// 0000000088A4: D3F30008 1C2209A4
	v_mfma_f32_16x16x32_fp8_fp8 v[8:11], a[166:167], a[6:7], v[8:11]// 0000000088AC: D3F30008 1C220DA6
	v_fma_f32 v48, v12, v4, v48                                // 0000000088B4: D1CB0030 04C2090C
	v_fma_f32 v49, v13, v4, v49                                // 0000000088BC: D1CB0031 04C6090D
	v_fma_f32 v50, v14, v4, v50                                // 0000000088C4: D1CB0032 04CA090E
	v_fma_f32 v51, v15, v4, v51                                // 0000000088CC: D1CB0033 04CE090F
	v_mfma_f32_16x16x32_fp8_fp8 v[12:15], a[168:169], a[0:1], 0// 0000000088D4: D3F3000C 1A0201A8
	buffer_load_dwordx4 a[92:95], v37, s[24:27], 0 offen offset:1024// 0000000088DC: E05C1400 80865C25
	v_mfma_f32_16x16x32_fp8_fp8 v[12:15], a[170:171], a[2:3], v[12:15]// 0000000088E4: D3F3000C 1C3205AA
	v_mfma_f32_16x16x32_fp8_fp8 v[12:15], a[172:173], a[4:5], v[12:15]// 0000000088EC: D3F3000C 1C3209AC
	v_mfma_f32_16x16x32_fp8_fp8 v[12:15], a[174:175], a[6:7], v[12:15]// 0000000088F4: D3F3000C 1C320DAE
	v_fma_f32 v52, v8, v6, v52                                 // 0000000088FC: D1CB0034 04D20D08
	v_fma_f32 v53, v9, v6, v53                                 // 000000008904: D1CB0035 04D60D09
	v_fma_f32 v54, v10, v6, v54                                // 00000000890C: D1CB0036 04DA0D0A
	v_fma_f32 v55, v11, v6, v55                                // 000000008914: D1CB0037 04DE0D0B
	v_mul_f32_dpp v4, v25, v32 row_newbcast:2 row_mask:0xf bank_mask:0xf// 00000000891C: 0A0840FA FF015219
	v_mfma_f32_16x16x32_fp8_fp8 v[8:11], a[176:177], a[0:1], 0 // 000000008924: D3F30008 1A0201B0
	buffer_load_dwordx4 a[96:99], v38, s[24:27], 0 offen       // 00000000892C: E05C1000 80866026
	v_mfma_f32_16x16x32_fp8_fp8 v[8:11], a[178:179], a[2:3], v[8:11]// 000000008934: D3F30008 1C2205B2
	v_mfma_f32_16x16x32_fp8_fp8 v[8:11], a[180:181], a[4:5], v[8:11]// 00000000893C: D3F30008 1C2209B4
	v_mfma_f32_16x16x32_fp8_fp8 v[8:11], a[182:183], a[6:7], v[8:11]// 000000008944: D3F30008 1C220DB6
	v_fma_f32 v56, v12, v6, v56                                // 00000000894C: D1CB0038 04E20D0C
	v_fma_f32 v57, v13, v6, v57                                // 000000008954: D1CB0039 04E60D0D
	v_fma_f32 v58, v14, v6, v58                                // 00000000895C: D1CB003A 04EA0D0E
	v_fma_f32 v59, v15, v6, v59                                // 000000008964: D1CB003B 04EE0D0F
	v_mfma_f32_16x16x32_fp8_fp8 v[12:15], a[184:185], a[0:1], 0// 00000000896C: D3F3000C 1A0201B8
	buffer_load_dwordx4 a[100:103], v38, s[24:27], 0 offen offset:1024// 000000008974: E05C1400 80866426
	v_mfma_f32_16x16x32_fp8_fp8 v[12:15], a[186:187], a[2:3], v[12:15]// 00000000897C: D3F3000C 1C3205BA
	v_mfma_f32_16x16x32_fp8_fp8 v[12:15], a[188:189], a[4:5], v[12:15]// 000000008984: D3F3000C 1C3209BC
	v_mfma_f32_16x16x32_fp8_fp8 v[12:15], a[190:191], a[6:7], v[12:15]// 00000000898C: D3F3000C 1C320DBE
	v_fma_f32 v60, v8, v4, v60                                 // 000000008994: D1CB003C 04F20908
	v_fma_f32 v61, v9, v4, v61                                 // 00000000899C: D1CB003D 04F60909
	v_fma_f32 v62, v10, v4, v62                                // 0000000089A4: D1CB003E 04FA090A
	v_fma_f32 v63, v11, v4, v63                                // 0000000089AC: D1CB003F 04FE090B
	v_mul_f32_dpp v6, v25, v32 row_newbcast:3 row_mask:0xf bank_mask:0xf// 0000000089B4: 0A0C40FA FF015319
	v_mfma_f32_16x16x32_fp8_fp8 v[8:11], a[192:193], a[0:1], 0 // 0000000089BC: D3F30008 1A0201C0
	buffer_load_dwordx4 a[104:107], v39, s[24:27], 0 offen     // 0000000089C4: E05C1000 80866827
	v_mfma_f32_16x16x32_fp8_fp8 v[8:11], a[194:195], a[2:3], v[8:11]// 0000000089CC: D3F30008 1C2205C2
	v_mfma_f32_16x16x32_fp8_fp8 v[8:11], a[196:197], a[4:5], v[8:11]// 0000000089D4: D3F30008 1C2209C4
	v_mfma_f32_16x16x32_fp8_fp8 v[8:11], a[198:199], a[6:7], v[8:11]// 0000000089DC: D3F30008 1C220DC6
	v_fma_f32 v64, v12, v4, v64                                // 0000000089E4: D1CB0040 0502090C
	v_fma_f32 v65, v13, v4, v65                                // 0000000089EC: D1CB0041 0506090D
	v_fma_f32 v66, v14, v4, v66                                // 0000000089F4: D1CB0042 050A090E
	v_fma_f32 v67, v15, v4, v67                                // 0000000089FC: D1CB0043 050E090F
	v_mfma_f32_16x16x32_fp8_fp8 v[12:15], a[200:201], a[0:1], 0// 000000008A04: D3F3000C 1A0201C8
	buffer_load_dwordx4 a[108:111], v39, s[24:27], 0 offen offset:1024// 000000008A0C: E05C1400 80866C27
	v_mfma_f32_16x16x32_fp8_fp8 v[12:15], a[202:203], a[2:3], v[12:15]// 000000008A14: D3F3000C 1C3205CA
	v_mfma_f32_16x16x32_fp8_fp8 v[12:15], a[204:205], a[4:5], v[12:15]// 000000008A1C: D3F3000C 1C3209CC
	v_mfma_f32_16x16x32_fp8_fp8 v[12:15], a[206:207], a[6:7], v[12:15]// 000000008A24: D3F3000C 1C320DCE
	v_fma_f32 v68, v8, v6, v68                                 // 000000008A2C: D1CB0044 05120D08
	v_fma_f32 v69, v9, v6, v69                                 // 000000008A34: D1CB0045 05160D09
	v_fma_f32 v70, v10, v6, v70                                // 000000008A3C: D1CB0046 051A0D0A
	v_fma_f32 v71, v11, v6, v71                                // 000000008A44: D1CB0047 051E0D0B
	v_fma_f32 v72, v12, v6, v72                                // 000000008A4C: D1CB0048 05220D0C
	v_fma_f32 v73, v13, v6, v73                                // 000000008A54: D1CB0049 05260D0D
	v_fma_f32 v74, v14, v6, v74                                // 000000008A5C: D1CB004A 052A0D0E
	v_fma_f32 v75, v15, v6, v75                                // 000000008A64: D1CB004B 052E0D0F
	buffer_load_dwordx4 a[112:115], v40, s[24:27], 0 offen     // 000000008A6C: E05C1000 80867028
	buffer_load_dwordx4 a[116:119], v40, s[24:27], 0 offen offset:1024// 000000008A74: E05C1400 80867428
	buffer_load_dwordx4 a[120:123], v41, s[24:27], 0 offen     // 000000008A7C: E05C1000 80867829
	buffer_load_dwordx4 a[124:127], v41, s[24:27], 0 offen offset:1024// 000000008A84: E05C1400 80867C29
	buffer_load_dwordx4 a[128:131], v42, s[24:27], 0 offen     // 000000008A8C: E05C1000 8086802A
	buffer_load_dwordx4 a[132:135], v42, s[24:27], 0 offen offset:1024// 000000008A94: E05C1400 8086842A
	buffer_load_dwordx4 a[136:139], v43, s[24:27], 0 offen     // 000000008A9C: E05C1000 8086882B
	buffer_load_dwordx4 a[140:143], v43, s[24:27], 0 offen offset:1024// 000000008AA4: E05C1400 80868C2B
	buffer_load_dword v34, s[20:23], 0 offen lds               // 000000008AAC: E0511000 80050022
	s_add_u32 m0, 0x100, s48                                   // 000000008AB4: 807C30FF 00000100
	buffer_load_dword v35, s[20:23], 0 offen lds               // 000000008ABC: E0511000 80050023
	s_add_u32 m0, 0, s49                                       // 000000008AC4: 807C3180
	buffer_load_dword v31, v30, s[28:31], 0 offen              // 000000008AC8: E0501000 80071F1E
	s_waitcnt vmcnt(20)                                        // 000000008AD0: BF8C4F74
	s_barrier                                                  // 000000008AD4: BF8A0000
	v_mul_f32_dpp v4, v28, v32 row_newbcast:0 row_mask:0xf bank_mask:0xf// 000000008AD8: 0A0840FA FF01501C
	v_mfma_f32_16x16x32_fp8_fp8 v[8:11], a[16:17], a[0:1], 0   // 000000008AE0: D3F30008 1A020110
	buffer_load_dword v29, v23, s[32:35], 0 offen              // 000000008AE8: E0501000 80081D17
	buffer_load_dwordx4 a[144:147], v36, s[84:87], 0 offen     // 000000008AF0: E05C1000 80959024
	v_mfma_f32_16x16x32_fp8_fp8 v[8:11], a[18:19], a[2:3], v[8:11]// 000000008AF8: D3F30008 1C220512
	v_mfma_f32_16x16x32_fp8_fp8 v[8:11], a[20:21], a[4:5], v[8:11]// 000000008B00: D3F30008 1C220914
	ds_read_b128 a[8:11], v2 offset:4352                       // 000000008B08: DBFE1100 08000002
	ds_read_b128 a[12:15], v2 offset:4416                      // 000000008B10: DBFE1140 0C000002
	v_mfma_f32_16x16x32_fp8_fp8 v[8:11], a[22:23], a[6:7], v[8:11]// 000000008B18: D3F30008 1C220D16
	v_mfma_f32_16x16x32_fp8_fp8 v[12:15], a[24:25], a[0:1], 0  // 000000008B20: D3F3000C 1A020118
	buffer_load_dwordx4 a[148:151], v36, s[84:87], 0 offen offset:1024// 000000008B28: E05C1400 80959424
	v_mfma_f32_16x16x32_fp8_fp8 v[12:15], a[26:27], a[2:3], v[12:15]// 000000008B30: D3F3000C 1C32051A
	v_mfma_f32_16x16x32_fp8_fp8 v[12:15], a[28:29], a[4:5], v[12:15]// 000000008B38: D3F3000C 1C32091C
	v_mfma_f32_16x16x32_fp8_fp8 v[12:15], a[30:31], a[6:7], v[12:15]// 000000008B40: D3F3000C 1C320D1E
	v_fma_f32 v76, v8, v4, v76                                 // 000000008B48: D1CB004C 05320908
	v_fma_f32 v77, v9, v4, v77                                 // 000000008B50: D1CB004D 05360909
	v_fma_f32 v78, v10, v4, v78                                // 000000008B58: D1CB004E 053A090A
	v_fma_f32 v79, v11, v4, v79                                // 000000008B60: D1CB004F 053E090B
	v_mul_f32_dpp v6, v28, v32 row_newbcast:1 row_mask:0xf bank_mask:0xf// 000000008B68: 0A0C40FA FF01511C
	v_mfma_f32_16x16x32_fp8_fp8 v[8:11], a[32:33], a[0:1], 0   // 000000008B70: D3F30008 1A020120
	buffer_load_dwordx4 a[152:155], v37, s[84:87], 0 offen     // 000000008B78: E05C1000 80959825
	v_mfma_f32_16x16x32_fp8_fp8 v[8:11], a[34:35], a[2:3], v[8:11]// 000000008B80: D3F30008 1C220522
	v_mfma_f32_16x16x32_fp8_fp8 v[8:11], a[36:37], a[4:5], v[8:11]// 000000008B88: D3F30008 1C220924
	v_mfma_f32_16x16x32_fp8_fp8 v[8:11], a[38:39], a[6:7], v[8:11]// 000000008B90: D3F30008 1C220D26
	v_fma_f32 v80, v12, v4, v80                                // 000000008B98: D1CB0050 0542090C
	v_fma_f32 v81, v13, v4, v81                                // 000000008BA0: D1CB0051 0546090D
	v_fma_f32 v82, v14, v4, v82                                // 000000008BA8: D1CB0052 054A090E
	v_fma_f32 v83, v15, v4, v83                                // 000000008BB0: D1CB0053 054E090F
	v_mfma_f32_16x16x32_fp8_fp8 v[12:15], a[40:41], a[0:1], 0  // 000000008BB8: D3F3000C 1A020128
	buffer_load_dwordx4 a[156:159], v37, s[84:87], 0 offen offset:1024// 000000008BC0: E05C1400 80959C25
	v_mfma_f32_16x16x32_fp8_fp8 v[12:15], a[42:43], a[2:3], v[12:15]// 000000008BC8: D3F3000C 1C32052A
	v_mfma_f32_16x16x32_fp8_fp8 v[12:15], a[44:45], a[4:5], v[12:15]// 000000008BD0: D3F3000C 1C32092C
	v_mfma_f32_16x16x32_fp8_fp8 v[12:15], a[46:47], a[6:7], v[12:15]// 000000008BD8: D3F3000C 1C320D2E
	v_fma_f32 v84, v8, v6, v84                                 // 000000008BE0: D1CB0054 05520D08
	v_fma_f32 v85, v9, v6, v85                                 // 000000008BE8: D1CB0055 05560D09
	v_fma_f32 v86, v10, v6, v86                                // 000000008BF0: D1CB0056 055A0D0A
	v_fma_f32 v87, v11, v6, v87                                // 000000008BF8: D1CB0057 055E0D0B
	v_mul_f32_dpp v4, v28, v32 row_newbcast:2 row_mask:0xf bank_mask:0xf// 000000008C00: 0A0840FA FF01521C
	v_mfma_f32_16x16x32_fp8_fp8 v[8:11], a[48:49], a[0:1], 0   // 000000008C08: D3F30008 1A020130
	buffer_load_dwordx4 a[160:163], v38, s[84:87], 0 offen     // 000000008C10: E05C1000 8095A026
	v_mfma_f32_16x16x32_fp8_fp8 v[8:11], a[50:51], a[2:3], v[8:11]// 000000008C18: D3F30008 1C220532
	v_mfma_f32_16x16x32_fp8_fp8 v[8:11], a[52:53], a[4:5], v[8:11]// 000000008C20: D3F30008 1C220934
	v_mfma_f32_16x16x32_fp8_fp8 v[8:11], a[54:55], a[6:7], v[8:11]// 000000008C28: D3F30008 1C220D36
	v_fma_f32 v88, v12, v6, v88                                // 000000008C30: D1CB0058 05620D0C
	v_fma_f32 v89, v13, v6, v89                                // 000000008C38: D1CB0059 05660D0D
	v_fma_f32 v90, v14, v6, v90                                // 000000008C40: D1CB005A 056A0D0E
	v_fma_f32 v91, v15, v6, v91                                // 000000008C48: D1CB005B 056E0D0F
	v_mfma_f32_16x16x32_fp8_fp8 v[12:15], a[56:57], a[0:1], 0  // 000000008C50: D3F3000C 1A020138
	buffer_load_dwordx4 a[164:167], v38, s[84:87], 0 offen offset:1024// 000000008C58: E05C1400 8095A426
	v_mfma_f32_16x16x32_fp8_fp8 v[12:15], a[58:59], a[2:3], v[12:15]// 000000008C60: D3F3000C 1C32053A
	v_mfma_f32_16x16x32_fp8_fp8 v[12:15], a[60:61], a[4:5], v[12:15]// 000000008C68: D3F3000C 1C32093C
	v_mfma_f32_16x16x32_fp8_fp8 v[12:15], a[62:63], a[6:7], v[12:15]// 000000008C70: D3F3000C 1C320D3E
	v_fma_f32 v92, v8, v4, v92                                 // 000000008C78: D1CB005C 05720908
	v_fma_f32 v93, v9, v4, v93                                 // 000000008C80: D1CB005D 05760909
	v_fma_f32 v94, v10, v4, v94                                // 000000008C88: D1CB005E 057A090A
	v_fma_f32 v95, v11, v4, v95                                // 000000008C90: D1CB005F 057E090B
	v_mul_f32_dpp v6, v28, v32 row_newbcast:3 row_mask:0xf bank_mask:0xf// 000000008C98: 0A0C40FA FF01531C
	v_mfma_f32_16x16x32_fp8_fp8 v[8:11], a[64:65], a[0:1], 0   // 000000008CA0: D3F30008 1A020140
	buffer_load_dwordx4 a[168:171], v39, s[84:87], 0 offen     // 000000008CA8: E05C1000 8095A827
	s_add_u32 s60, 0x180, s80                                  // 000000008CB0: 803C50FF 00000180
	s_cmp_lt_u32 s60, s81                                      // 000000008CB8: BF0A513C
	s_cselect_b32 s57, s57, 0                                  // 000000008CBC: 85398039
	s_cselect_b32 s3, s3, 0                                    // 000000008CC0: 85038003
	v_mfma_f32_16x16x32_fp8_fp8 v[8:11], a[66:67], a[2:3], v[8:11]// 000000008CC4: D3F30008 1C220542
	s_add_u32 s60, 0x100, s80                                  // 000000008CCC: 803C50FF 00000100
	s_cmp_lt_u32 s60, s81                                      // 000000008CD4: BF0A513C
	s_cselect_b32 s58, s58, 0                                  // 000000008CD8: 853A803A
	v_mfma_f32_16x16x32_fp8_fp8 v[8:11], a[68:69], a[4:5], v[8:11]// 000000008CDC: D3F30008 1C220944
	s_add_u32 s60, 0x100, s80                                  // 000000008CE4: 803C50FF 00000100
	s_cmp_lt_u32 s60, s81                                      // 000000008CEC: BF0A513C
	s_cselect_b32 s83, s83, 0                                  // 000000008CF0: 85538053
	s_cselect_b32 s4, s4, 0                                    // 000000008CF4: 85048004
	v_mfma_f32_16x16x32_fp8_fp8 v[8:11], a[70:71], a[6:7], v[8:11]// 000000008CF8: D3F30008 1C220D46
	s_add_u32 s24, s58, s24                                    // 000000008D00: 8018183A
	s_addc_u32 s25, 0, s25                                     // 000000008D04: 82191980
	v_fma_f32 v96, v12, v4, v96                                // 000000008D08: D1CB0060 0582090C
	v_fma_f32 v97, v13, v4, v97                                // 000000008D10: D1CB0061 0586090D
	v_fma_f32 v98, v14, v4, v98                                // 000000008D18: D1CB0062 058A090E
	v_fma_f32 v99, v15, v4, v99                                // 000000008D20: D1CB0063 058E090F
	v_mfma_f32_16x16x32_fp8_fp8 v[12:15], a[72:73], a[0:1], 0  // 000000008D28: D3F3000C 1A020148
	buffer_load_dwordx4 a[172:175], v39, s[84:87], 0 offen offset:1024// 000000008D30: E05C1400 8095AC27
	s_add_u32 s20, s57, s20                                    // 000000008D38: 80141439
	s_addc_u32 s21, 0, s21                                     // 000000008D3C: 82151580
	s_add_u32 s28, s3, s28                                     // 000000008D40: 801C1C03
	s_addc_u32 s29, 0, s29                                     // 000000008D44: 821D1D80
	v_mfma_f32_16x16x32_fp8_fp8 v[12:15], a[74:75], a[2:3], v[12:15]// 000000008D48: D3F3000C 1C32054A
	v_mfma_f32_16x16x32_fp8_fp8 v[12:15], a[76:77], a[4:5], v[12:15]// 000000008D50: D3F3000C 1C32094C
	s_add_u32 s32, s4, s32                                     // 000000008D58: 80202004
	s_addc_u32 s33, 0, s33                                     // 000000008D5C: 82212180
	v_mfma_f32_16x16x32_fp8_fp8 v[12:15], a[78:79], a[6:7], v[12:15]// 000000008D60: D3F3000C 1C320D4E
	v_fma_f32 v100, v8, v6, v100                               // 000000008D68: D1CB0064 05920D08
	v_fma_f32 v101, v9, v6, v101                               // 000000008D70: D1CB0065 05960D09
	v_fma_f32 v102, v10, v6, v102                              // 000000008D78: D1CB0066 059A0D0A
	v_fma_f32 v103, v11, v6, v103                              // 000000008D80: D1CB0067 059E0D0B
	v_fma_f32 v104, v12, v6, v104                              // 000000008D88: D1CB0068 05A20D0C
	v_fma_f32 v105, v13, v6, v105                              // 000000008D90: D1CB0069 05A60D0D
	v_fma_f32 v106, v14, v6, v106                              // 000000008D98: D1CB006A 05AA0D0E
	v_fma_f32 v107, v15, v6, v107                              // 000000008DA0: D1CB006B 05AE0D0F
	buffer_load_dwordx4 a[176:179], v40, s[84:87], 0 offen     // 000000008DA8: E05C1000 8095B028
	buffer_load_dwordx4 a[180:183], v40, s[84:87], 0 offen offset:1024// 000000008DB0: E05C1400 8095B428
	buffer_load_dwordx4 a[184:187], v41, s[84:87], 0 offen     // 000000008DB8: E05C1000 8095B829
	buffer_load_dwordx4 a[188:191], v41, s[84:87], 0 offen offset:1024// 000000008DC0: E05C1400 8095BC29
	buffer_load_dwordx4 a[192:195], v42, s[84:87], 0 offen     // 000000008DC8: E05C1000 8095C02A
	buffer_load_dwordx4 a[196:199], v42, s[84:87], 0 offen offset:1024// 000000008DD0: E05C1400 8095C42A
	buffer_load_dwordx4 a[200:203], v43, s[84:87], 0 offen     // 000000008DD8: E05C1000 8095C82B
	buffer_load_dwordx4 a[204:207], v43, s[84:87], 0 offen offset:1024// 000000008DE0: E05C1400 8095CC2B
	s_add_u32 s84, s83, s84                                    // 000000008DE8: 80545453
	s_addc_u32 s85, 0, s85                                     // 000000008DEC: 82555580
	s_addk_i32 s80, 0x80                                       // 000000008DF0: B7500080
	s_cmp_lt_i32 s80, s81                                      // 000000008DF4: BF045150
	s_cbranch_scc0 label_1A82                                  // 000000008DF8: BF840180
	s_waitcnt vmcnt(20) lgkmcnt(0)                             // 000000008DFC: BF8C4074
	v_mul_f32_dpp v4, v26, v33 row_newbcast:0 row_mask:0xf bank_mask:0xf// 000000008E00: 0A0842FA FF01501A
	v_mfma_f32_16x16x32_fp8_fp8 v[8:11], a[80:81], a[8:9], 0   // 000000008E08: D3F30008 1A021150
	buffer_load_dword v24, v22, s[32:35], 0 offen              // 000000008E10: E0501000 80081816
	buffer_load_dwordx4 a[16:19], v36, s[24:27], 0 offen       // 000000008E18: E05C1000 80861024
	v_mfma_f32_16x16x32_fp8_fp8 v[8:11], a[82:83], a[10:11], v[8:11]// 000000008E20: D3F30008 1C221552
	v_mfma_f32_16x16x32_fp8_fp8 v[8:11], a[84:85], a[12:13], v[8:11]// 000000008E28: D3F30008 1C221954
	v_mfma_f32_16x16x32_fp8_fp8 v[8:11], a[86:87], a[14:15], v[8:11]// 000000008E30: D3F30008 1C221D56
	v_mfma_f32_16x16x32_fp8_fp8 v[12:15], a[88:89], a[8:9], 0  // 000000008E38: D3F3000C 1A021158
	buffer_load_dwordx4 a[20:23], v36, s[24:27], 0 offen offset:1024// 000000008E40: E05C1400 80861424
	v_mfma_f32_16x16x32_fp8_fp8 v[12:15], a[90:91], a[10:11], v[12:15]// 000000008E48: D3F3000C 1C32155A
	v_mfma_f32_16x16x32_fp8_fp8 v[12:15], a[92:93], a[12:13], v[12:15]// 000000008E50: D3F3000C 1C32195C
	v_mfma_f32_16x16x32_fp8_fp8 v[12:15], a[94:95], a[14:15], v[12:15]// 000000008E58: D3F3000C 1C321D5E
	v_fma_f32 v44, v8, v4, v44                                 // 000000008E60: D1CB002C 04B20908
	v_fma_f32 v45, v9, v4, v45                                 // 000000008E68: D1CB002D 04B60909
	v_fma_f32 v46, v10, v4, v46                                // 000000008E70: D1CB002E 04BA090A
	v_fma_f32 v47, v11, v4, v47                                // 000000008E78: D1CB002F 04BE090B
	v_mul_f32_dpp v6, v26, v33 row_newbcast:1 row_mask:0xf bank_mask:0xf// 000000008E80: 0A0C42FA FF01511A
	v_mfma_f32_16x16x32_fp8_fp8 v[8:11], a[96:97], a[8:9], 0   // 000000008E88: D3F30008 1A021160
	buffer_load_dwordx4 a[24:27], v37, s[24:27], 0 offen       // 000000008E90: E05C1000 80861825
	v_mfma_f32_16x16x32_fp8_fp8 v[8:11], a[98:99], a[10:11], v[8:11]// 000000008E98: D3F30008 1C221562
	v_mfma_f32_16x16x32_fp8_fp8 v[8:11], a[100:101], a[12:13], v[8:11]// 000000008EA0: D3F30008 1C221964
	v_mfma_f32_16x16x32_fp8_fp8 v[8:11], a[102:103], a[14:15], v[8:11]// 000000008EA8: D3F30008 1C221D66
	v_fma_f32 v48, v12, v4, v48                                // 000000008EB0: D1CB0030 04C2090C
	v_fma_f32 v49, v13, v4, v49                                // 000000008EB8: D1CB0031 04C6090D
	v_fma_f32 v50, v14, v4, v50                                // 000000008EC0: D1CB0032 04CA090E
	v_fma_f32 v51, v15, v4, v51                                // 000000008EC8: D1CB0033 04CE090F
	v_mfma_f32_16x16x32_fp8_fp8 v[12:15], a[104:105], a[8:9], 0// 000000008ED0: D3F3000C 1A021168
	buffer_load_dwordx4 a[28:31], v37, s[24:27], 0 offen offset:1024// 000000008ED8: E05C1400 80861C25
	v_mfma_f32_16x16x32_fp8_fp8 v[12:15], a[106:107], a[10:11], v[12:15]// 000000008EE0: D3F3000C 1C32156A
	v_mfma_f32_16x16x32_fp8_fp8 v[12:15], a[108:109], a[12:13], v[12:15]// 000000008EE8: D3F3000C 1C32196C
	v_mfma_f32_16x16x32_fp8_fp8 v[12:15], a[110:111], a[14:15], v[12:15]// 000000008EF0: D3F3000C 1C321D6E
	v_fma_f32 v52, v8, v6, v52                                 // 000000008EF8: D1CB0034 04D20D08
	v_fma_f32 v53, v9, v6, v53                                 // 000000008F00: D1CB0035 04D60D09
	v_fma_f32 v54, v10, v6, v54                                // 000000008F08: D1CB0036 04DA0D0A
	v_fma_f32 v55, v11, v6, v55                                // 000000008F10: D1CB0037 04DE0D0B
	v_mul_f32_dpp v4, v26, v33 row_newbcast:2 row_mask:0xf bank_mask:0xf// 000000008F18: 0A0842FA FF01521A
	v_mfma_f32_16x16x32_fp8_fp8 v[8:11], a[112:113], a[8:9], 0 // 000000008F20: D3F30008 1A021170
	buffer_load_dwordx4 a[32:35], v38, s[24:27], 0 offen       // 000000008F28: E05C1000 80862026
	v_mfma_f32_16x16x32_fp8_fp8 v[8:11], a[114:115], a[10:11], v[8:11]// 000000008F30: D3F30008 1C221572
	v_mfma_f32_16x16x32_fp8_fp8 v[8:11], a[116:117], a[12:13], v[8:11]// 000000008F38: D3F30008 1C221974
	v_mfma_f32_16x16x32_fp8_fp8 v[8:11], a[118:119], a[14:15], v[8:11]// 000000008F40: D3F30008 1C221D76
	v_fma_f32 v56, v12, v6, v56                                // 000000008F48: D1CB0038 04E20D0C
	v_fma_f32 v57, v13, v6, v57                                // 000000008F50: D1CB0039 04E60D0D
	v_fma_f32 v58, v14, v6, v58                                // 000000008F58: D1CB003A 04EA0D0E
	v_fma_f32 v59, v15, v6, v59                                // 000000008F60: D1CB003B 04EE0D0F
	v_mfma_f32_16x16x32_fp8_fp8 v[12:15], a[120:121], a[8:9], 0// 000000008F68: D3F3000C 1A021178
	buffer_load_dwordx4 a[36:39], v38, s[24:27], 0 offen offset:1024// 000000008F70: E05C1400 80862426
	v_mfma_f32_16x16x32_fp8_fp8 v[12:15], a[122:123], a[10:11], v[12:15]// 000000008F78: D3F3000C 1C32157A
	v_mfma_f32_16x16x32_fp8_fp8 v[12:15], a[124:125], a[12:13], v[12:15]// 000000008F80: D3F3000C 1C32197C
	v_mfma_f32_16x16x32_fp8_fp8 v[12:15], a[126:127], a[14:15], v[12:15]// 000000008F88: D3F3000C 1C321D7E
	v_fma_f32 v60, v8, v4, v60                                 // 000000008F90: D1CB003C 04F20908
	v_fma_f32 v61, v9, v4, v61                                 // 000000008F98: D1CB003D 04F60909
	v_fma_f32 v62, v10, v4, v62                                // 000000008FA0: D1CB003E 04FA090A
	v_fma_f32 v63, v11, v4, v63                                // 000000008FA8: D1CB003F 04FE090B
	v_mul_f32_dpp v6, v26, v33 row_newbcast:3 row_mask:0xf bank_mask:0xf// 000000008FB0: 0A0C42FA FF01531A
	v_mfma_f32_16x16x32_fp8_fp8 v[8:11], a[128:129], a[8:9], 0 // 000000008FB8: D3F30008 1A021180
	buffer_load_dwordx4 a[40:43], v39, s[24:27], 0 offen       // 000000008FC0: E05C1000 80862827
	v_mfma_f32_16x16x32_fp8_fp8 v[8:11], a[130:131], a[10:11], v[8:11]// 000000008FC8: D3F30008 1C221582
	v_mfma_f32_16x16x32_fp8_fp8 v[8:11], a[132:133], a[12:13], v[8:11]// 000000008FD0: D3F30008 1C221984
	v_mfma_f32_16x16x32_fp8_fp8 v[8:11], a[134:135], a[14:15], v[8:11]// 000000008FD8: D3F30008 1C221D86
	v_fma_f32 v64, v12, v4, v64                                // 000000008FE0: D1CB0040 0502090C
	v_fma_f32 v65, v13, v4, v65                                // 000000008FE8: D1CB0041 0506090D
	v_fma_f32 v66, v14, v4, v66                                // 000000008FF0: D1CB0042 050A090E
	v_fma_f32 v67, v15, v4, v67                                // 000000008FF8: D1CB0043 050E090F
	v_mfma_f32_16x16x32_fp8_fp8 v[12:15], a[136:137], a[8:9], 0// 000000009000: D3F3000C 1A021188
	buffer_load_dwordx4 a[44:47], v39, s[24:27], 0 offen offset:1024// 000000009008: E05C1400 80862C27
	v_mfma_f32_16x16x32_fp8_fp8 v[12:15], a[138:139], a[10:11], v[12:15]// 000000009010: D3F3000C 1C32158A
	v_mfma_f32_16x16x32_fp8_fp8 v[12:15], a[140:141], a[12:13], v[12:15]// 000000009018: D3F3000C 1C32198C
	v_mfma_f32_16x16x32_fp8_fp8 v[12:15], a[142:143], a[14:15], v[12:15]// 000000009020: D3F3000C 1C321D8E
	v_fma_f32 v68, v8, v6, v68                                 // 000000009028: D1CB0044 05120D08
	v_fma_f32 v69, v9, v6, v69                                 // 000000009030: D1CB0045 05160D09
	v_fma_f32 v70, v10, v6, v70                                // 000000009038: D1CB0046 051A0D0A
	v_fma_f32 v71, v11, v6, v71                                // 000000009040: D1CB0047 051E0D0B
	v_fma_f32 v72, v12, v6, v72                                // 000000009048: D1CB0048 05220D0C
	v_fma_f32 v73, v13, v6, v73                                // 000000009050: D1CB0049 05260D0D
	v_fma_f32 v74, v14, v6, v74                                // 000000009058: D1CB004A 052A0D0E
	v_fma_f32 v75, v15, v6, v75                                // 000000009060: D1CB004B 052E0D0F
	buffer_load_dwordx4 a[48:51], v40, s[24:27], 0 offen       // 000000009068: E05C1000 80863028
	buffer_load_dwordx4 a[52:55], v40, s[24:27], 0 offen offset:1024// 000000009070: E05C1400 80863428
	buffer_load_dwordx4 a[56:59], v41, s[24:27], 0 offen       // 000000009078: E05C1000 80863829
	buffer_load_dwordx4 a[60:63], v41, s[24:27], 0 offen offset:1024// 000000009080: E05C1400 80863C29
	buffer_load_dwordx4 a[64:67], v42, s[24:27], 0 offen       // 000000009088: E05C1000 8086402A
	buffer_load_dwordx4 a[68:71], v42, s[24:27], 0 offen offset:1024// 000000009090: E05C1400 8086442A
	buffer_load_dwordx4 a[72:75], v43, s[24:27], 0 offen       // 000000009098: E05C1000 8086482B
	buffer_load_dwordx4 a[76:79], v43, s[24:27], 0 offen offset:1024// 0000000090A0: E05C1400 80864C2B
	buffer_load_dword v34, s[20:23], 0 offen lds               // 0000000090A8: E0511000 80050022
	s_add_u32 m0, 0x100, s49                                   // 0000000090B0: 807C31FF 00000100
	buffer_load_dword v35, s[20:23], 0 offen lds               // 0000000090B8: E0511000 80050023
	s_add_u32 m0, 0, s50                                       // 0000000090C0: 807C3280
	buffer_load_dword v32, v30, s[28:31], 0 offen              // 0000000090C4: E0501000 8007201E
	s_waitcnt vmcnt(20)                                        // 0000000090CC: BF8C4F74
	s_barrier                                                  // 0000000090D0: BF8A0000
	v_mul_f32_dpp v4, v29, v33 row_newbcast:0 row_mask:0xf bank_mask:0xf// 0000000090D4: 0A0842FA FF01501D
	v_mfma_f32_16x16x32_fp8_fp8 v[8:11], a[144:145], a[8:9], 0 // 0000000090DC: D3F30008 1A021190
	buffer_load_dword v27, v23, s[32:35], 0 offen              // 0000000090E4: E0501000 80081B17
	buffer_load_dwordx4 a[80:83], v36, s[84:87], 0 offen       // 0000000090EC: E05C1000 80955024
	v_mfma_f32_16x16x32_fp8_fp8 v[8:11], a[146:147], a[10:11], v[8:11]// 0000000090F4: D3F30008 1C221592
	v_mfma_f32_16x16x32_fp8_fp8 v[8:11], a[148:149], a[12:13], v[8:11]// 0000000090FC: D3F30008 1C221994
	ds_read_b128 a[0:3], v2                                    // 000000009104: DBFE0000 00000002
	ds_read_b128 a[4:7], v2 offset:64                          // 00000000910C: DBFE0040 04000002
	v_mfma_f32_16x16x32_fp8_fp8 v[8:11], a[150:151], a[14:15], v[8:11]// 000000009114: D3F30008 1C221D96
	v_mfma_f32_16x16x32_fp8_fp8 v[12:15], a[152:153], a[8:9], 0// 00000000911C: D3F3000C 1A021198
	buffer_load_dwordx4 a[84:87], v36, s[84:87], 0 offen offset:1024// 000000009124: E05C1400 80955424
	v_mfma_f32_16x16x32_fp8_fp8 v[12:15], a[154:155], a[10:11], v[12:15]// 00000000912C: D3F3000C 1C32159A
	v_mfma_f32_16x16x32_fp8_fp8 v[12:15], a[156:157], a[12:13], v[12:15]// 000000009134: D3F3000C 1C32199C
	v_mfma_f32_16x16x32_fp8_fp8 v[12:15], a[158:159], a[14:15], v[12:15]// 00000000913C: D3F3000C 1C321D9E
	v_fma_f32 v76, v8, v4, v76                                 // 000000009144: D1CB004C 05320908
	v_fma_f32 v77, v9, v4, v77                                 // 00000000914C: D1CB004D 05360909
	v_fma_f32 v78, v10, v4, v78                                // 000000009154: D1CB004E 053A090A
	v_fma_f32 v79, v11, v4, v79                                // 00000000915C: D1CB004F 053E090B
	v_mul_f32_dpp v6, v29, v33 row_newbcast:1 row_mask:0xf bank_mask:0xf// 000000009164: 0A0C42FA FF01511D
	v_mfma_f32_16x16x32_fp8_fp8 v[8:11], a[160:161], a[8:9], 0 // 00000000916C: D3F30008 1A0211A0
	buffer_load_dwordx4 a[88:91], v37, s[84:87], 0 offen       // 000000009174: E05C1000 80955825
	v_mfma_f32_16x16x32_fp8_fp8 v[8:11], a[162:163], a[10:11], v[8:11]// 00000000917C: D3F30008 1C2215A2
	v_mfma_f32_16x16x32_fp8_fp8 v[8:11], a[164:165], a[12:13], v[8:11]// 000000009184: D3F30008 1C2219A4
	v_mfma_f32_16x16x32_fp8_fp8 v[8:11], a[166:167], a[14:15], v[8:11]// 00000000918C: D3F30008 1C221DA6
	v_fma_f32 v80, v12, v4, v80                                // 000000009194: D1CB0050 0542090C
	v_fma_f32 v81, v13, v4, v81                                // 00000000919C: D1CB0051 0546090D
	v_fma_f32 v82, v14, v4, v82                                // 0000000091A4: D1CB0052 054A090E
	v_fma_f32 v83, v15, v4, v83                                // 0000000091AC: D1CB0053 054E090F
	v_mfma_f32_16x16x32_fp8_fp8 v[12:15], a[168:169], a[8:9], 0// 0000000091B4: D3F3000C 1A0211A8
	buffer_load_dwordx4 a[92:95], v37, s[84:87], 0 offen offset:1024// 0000000091BC: E05C1400 80955C25
	v_mfma_f32_16x16x32_fp8_fp8 v[12:15], a[170:171], a[10:11], v[12:15]// 0000000091C4: D3F3000C 1C3215AA
	v_mfma_f32_16x16x32_fp8_fp8 v[12:15], a[172:173], a[12:13], v[12:15]// 0000000091CC: D3F3000C 1C3219AC
	v_mfma_f32_16x16x32_fp8_fp8 v[12:15], a[174:175], a[14:15], v[12:15]// 0000000091D4: D3F3000C 1C321DAE
	v_fma_f32 v84, v8, v6, v84                                 // 0000000091DC: D1CB0054 05520D08
	v_fma_f32 v85, v9, v6, v85                                 // 0000000091E4: D1CB0055 05560D09
	v_fma_f32 v86, v10, v6, v86                                // 0000000091EC: D1CB0056 055A0D0A
	v_fma_f32 v87, v11, v6, v87                                // 0000000091F4: D1CB0057 055E0D0B
	v_mul_f32_dpp v4, v29, v33 row_newbcast:2 row_mask:0xf bank_mask:0xf// 0000000091FC: 0A0842FA FF01521D
	v_mfma_f32_16x16x32_fp8_fp8 v[8:11], a[176:177], a[8:9], 0 // 000000009204: D3F30008 1A0211B0
	buffer_load_dwordx4 a[96:99], v38, s[84:87], 0 offen       // 00000000920C: E05C1000 80956026
	v_mfma_f32_16x16x32_fp8_fp8 v[8:11], a[178:179], a[10:11], v[8:11]// 000000009214: D3F30008 1C2215B2
	v_mfma_f32_16x16x32_fp8_fp8 v[8:11], a[180:181], a[12:13], v[8:11]// 00000000921C: D3F30008 1C2219B4
	v_mfma_f32_16x16x32_fp8_fp8 v[8:11], a[182:183], a[14:15], v[8:11]// 000000009224: D3F30008 1C221DB6
	v_fma_f32 v88, v12, v6, v88                                // 00000000922C: D1CB0058 05620D0C
	v_fma_f32 v89, v13, v6, v89                                // 000000009234: D1CB0059 05660D0D
	v_fma_f32 v90, v14, v6, v90                                // 00000000923C: D1CB005A 056A0D0E
	v_fma_f32 v91, v15, v6, v91                                // 000000009244: D1CB005B 056E0D0F
	v_mfma_f32_16x16x32_fp8_fp8 v[12:15], a[184:185], a[8:9], 0// 00000000924C: D3F3000C 1A0211B8
	buffer_load_dwordx4 a[100:103], v38, s[84:87], 0 offen offset:1024// 000000009254: E05C1400 80956426
	v_mfma_f32_16x16x32_fp8_fp8 v[12:15], a[186:187], a[10:11], v[12:15]// 00000000925C: D3F3000C 1C3215BA
	v_mfma_f32_16x16x32_fp8_fp8 v[12:15], a[188:189], a[12:13], v[12:15]// 000000009264: D3F3000C 1C3219BC
	v_mfma_f32_16x16x32_fp8_fp8 v[12:15], a[190:191], a[14:15], v[12:15]// 00000000926C: D3F3000C 1C321DBE
	v_fma_f32 v92, v8, v4, v92                                 // 000000009274: D1CB005C 05720908
	v_fma_f32 v93, v9, v4, v93                                 // 00000000927C: D1CB005D 05760909
	v_fma_f32 v94, v10, v4, v94                                // 000000009284: D1CB005E 057A090A
	v_fma_f32 v95, v11, v4, v95                                // 00000000928C: D1CB005F 057E090B
	v_mul_f32_dpp v6, v29, v33 row_newbcast:3 row_mask:0xf bank_mask:0xf// 000000009294: 0A0C42FA FF01531D
	v_mfma_f32_16x16x32_fp8_fp8 v[8:11], a[192:193], a[8:9], 0 // 00000000929C: D3F30008 1A0211C0
	buffer_load_dwordx4 a[104:107], v39, s[84:87], 0 offen     // 0000000092A4: E05C1000 80956827
	s_add_u32 s60, 0x180, s80                                  // 0000000092AC: 803C50FF 00000180
	s_cmp_lt_u32 s60, s81                                      // 0000000092B4: BF0A513C
	s_cselect_b32 s57, s57, 0                                  // 0000000092B8: 85398039
	s_cselect_b32 s3, s3, 0                                    // 0000000092BC: 85038003
	v_mfma_f32_16x16x32_fp8_fp8 v[8:11], a[194:195], a[10:11], v[8:11]// 0000000092C0: D3F30008 1C2215C2
	s_add_u32 s60, 0x100, s80                                  // 0000000092C8: 803C50FF 00000100
	s_cmp_lt_u32 s60, s81                                      // 0000000092D0: BF0A513C
	s_cselect_b32 s58, s58, 0                                  // 0000000092D4: 853A803A
	v_mfma_f32_16x16x32_fp8_fp8 v[8:11], a[196:197], a[12:13], v[8:11]// 0000000092D8: D3F30008 1C2219C4
	s_add_u32 s60, 0x100, s80                                  // 0000000092E0: 803C50FF 00000100
	s_cmp_lt_u32 s60, s81                                      // 0000000092E8: BF0A513C
	s_cselect_b32 s83, s83, 0                                  // 0000000092EC: 85538053
	s_cselect_b32 s4, s4, 0                                    // 0000000092F0: 85048004
	v_mfma_f32_16x16x32_fp8_fp8 v[8:11], a[198:199], a[14:15], v[8:11]// 0000000092F4: D3F30008 1C221DC6
	s_add_u32 s24, s58, s24                                    // 0000000092FC: 8018183A
	s_addc_u32 s25, 0, s25                                     // 000000009300: 82191980
	v_fma_f32 v96, v12, v4, v96                                // 000000009304: D1CB0060 0582090C
	v_fma_f32 v97, v13, v4, v97                                // 00000000930C: D1CB0061 0586090D
	v_fma_f32 v98, v14, v4, v98                                // 000000009314: D1CB0062 058A090E
	v_fma_f32 v99, v15, v4, v99                                // 00000000931C: D1CB0063 058E090F
	v_mfma_f32_16x16x32_fp8_fp8 v[12:15], a[200:201], a[8:9], 0// 000000009324: D3F3000C 1A0211C8
	buffer_load_dwordx4 a[108:111], v39, s[84:87], 0 offen offset:1024// 00000000932C: E05C1400 80956C27
	s_add_u32 s20, s57, s20                                    // 000000009334: 80141439
	s_addc_u32 s21, 0, s21                                     // 000000009338: 82151580
	s_add_u32 s28, s3, s28                                     // 00000000933C: 801C1C03
	s_addc_u32 s29, 0, s29                                     // 000000009340: 821D1D80
	v_mfma_f32_16x16x32_fp8_fp8 v[12:15], a[202:203], a[10:11], v[12:15]// 000000009344: D3F3000C 1C3215CA
	v_mfma_f32_16x16x32_fp8_fp8 v[12:15], a[204:205], a[12:13], v[12:15]// 00000000934C: D3F3000C 1C3219CC
	s_add_u32 s32, s4, s32                                     // 000000009354: 80202004
	s_addc_u32 s33, 0, s33                                     // 000000009358: 82212180
	v_mfma_f32_16x16x32_fp8_fp8 v[12:15], a[206:207], a[14:15], v[12:15]// 00000000935C: D3F3000C 1C321DCE
	v_fma_f32 v100, v8, v6, v100                               // 000000009364: D1CB0064 05920D08
	v_fma_f32 v101, v9, v6, v101                               // 00000000936C: D1CB0065 05960D09
	v_fma_f32 v102, v10, v6, v102                              // 000000009374: D1CB0066 059A0D0A
	v_fma_f32 v103, v11, v6, v103                              // 00000000937C: D1CB0067 059E0D0B
	v_fma_f32 v104, v12, v6, v104                              // 000000009384: D1CB0068 05A20D0C
	v_fma_f32 v105, v13, v6, v105                              // 00000000938C: D1CB0069 05A60D0D
	v_fma_f32 v106, v14, v6, v106                              // 000000009394: D1CB006A 05AA0D0E
	v_fma_f32 v107, v15, v6, v107                              // 00000000939C: D1CB006B 05AE0D0F
	buffer_load_dwordx4 a[112:115], v40, s[84:87], 0 offen     // 0000000093A4: E05C1000 80957028
	buffer_load_dwordx4 a[116:119], v40, s[84:87], 0 offen offset:1024// 0000000093AC: E05C1400 80957428
	buffer_load_dwordx4 a[120:123], v41, s[84:87], 0 offen     // 0000000093B4: E05C1000 80957829
	buffer_load_dwordx4 a[124:127], v41, s[84:87], 0 offen offset:1024// 0000000093BC: E05C1400 80957C29
	buffer_load_dwordx4 a[128:131], v42, s[84:87], 0 offen     // 0000000093C4: E05C1000 8095802A
	buffer_load_dwordx4 a[132:135], v42, s[84:87], 0 offen offset:1024// 0000000093CC: E05C1400 8095842A
	buffer_load_dwordx4 a[136:139], v43, s[84:87], 0 offen     // 0000000093D4: E05C1000 8095882B
	buffer_load_dwordx4 a[140:143], v43, s[84:87], 0 offen offset:1024// 0000000093DC: E05C1400 80958C2B
	s_add_u32 s84, s83, s84                                    // 0000000093E4: 80545453
	s_addc_u32 s85, 0, s85                                     // 0000000093E8: 82555580
	s_addk_i32 s80, 0x80                                       // 0000000093EC: B7500080
	s_cmp_lt_i32 s80, s81                                      // 0000000093F0: BF045150
	s_cbranch_scc0 label_1A82                                  // 0000000093F4: BF840001
	s_branch label_1187                                        // 0000000093F8: BF82F705

00000000000093fc <label_1A82>:
	s_cmp_eq_u32 s88, 0                                        // 0000000093FC: BF068058
	s_cbranch_scc0 label_1EFB                                  // 000000009400: BF840477
	s_cmp_eq_u32 s89, 0                                        // 000000009404: BF068059
	s_cbranch_scc1 label_1BCB                                  // 000000009408: BF850145
	v_mov_b32_e32 v8, v1                                       // 00000000940C: 7E100301
	v_mov_b32_e32 v9, v1                                       // 000000009410: 7E120301
	s_mov_b32 s60, s6                                          // 000000009414: BEBC0006
	s_mov_b32 s61, s6                                          // 000000009418: BEBD0006
	v_pk_mul_f32 v[4:5], v[44:45], v[44:45]                    // 00000000941C: D3B14004 1802592C
	v_pk_mul_f32 v[6:7], v[46:47], v[46:47]                    // 000000009424: D3B14006 18025D2E
	v_pk_fma_f32 v[4:5], v[4:5], s[78:79], v[8:9]              // 00000000942C: D3B04004 1C209D04
	v_pk_fma_f32 v[6:7], v[6:7], s[78:79], v[8:9]              // 000000009434: D3B04006 1C209D06
	v_pk_mul_f32 v[4:5], v[4:5], v[44:45]                      // 00000000943C: D3B14004 18025904
	v_pk_mul_f32 v[6:7], v[6:7], v[46:47]                      // 000000009444: D3B14006 18025D06
	v_pk_mul_f32 v[4:5], v[4:5], s[60:61]                      // 00000000944C: D3B14004 18007904
	v_pk_mul_f32 v[6:7], v[6:7], s[60:61]                      // 000000009454: D3B14006 18007906
	v_exp_f32_e32 v4, v4                                       // 00000000945C: 7E084104
	v_exp_f32_e32 v5, v5                                       // 000000009460: 7E0A4105
	v_exp_f32_e32 v6, v6                                       // 000000009464: 7E0C4106
	v_exp_f32_e32 v7, v7                                       // 000000009468: 7E0E4107
	v_add_f32_e64 v4, v4, 1.0                                  // 00000000946C: D1010004 0001E504
	v_add_f32_e64 v5, v5, 1.0                                  // 000000009474: D1010005 0001E505
	v_add_f32_e64 v6, v6, 1.0                                  // 00000000947C: D1010006 0001E506
	v_add_f32_e64 v7, v7, 1.0                                  // 000000009484: D1010007 0001E507
	v_rcp_f32_e32 v4, v4                                       // 00000000948C: 7E084504
	v_rcp_f32_e32 v5, v5                                       // 000000009490: 7E0A4505
	v_rcp_f32_e32 v6, v6                                       // 000000009494: 7E0C4506
	v_rcp_f32_e32 v7, v7                                       // 000000009498: 7E0E4507
	v_mul_f32_e32 v44, v44, v4                                 // 00000000949C: 0A58092C
	v_mul_f32_e32 v45, v45, v5                                 // 0000000094A0: 0A5A0B2D
	v_mul_f32_e32 v46, v46, v6                                 // 0000000094A4: 0A5C0D2E
	v_mul_f32_e32 v47, v47, v7                                 // 0000000094A8: 0A5E0F2F
	v_mul_f32_e32 v44, v44, v76                                // 0000000094AC: 0A58992C
	v_mul_f32_e32 v45, v45, v77                                // 0000000094B0: 0A5A9B2D
	v_mul_f32_e32 v46, v46, v78                                // 0000000094B4: 0A5C9D2E
	v_mul_f32_e32 v47, v47, v79                                // 0000000094B8: 0A5E9F2F
	v_pk_mul_f32 v[4:5], v[48:49], v[48:49]                    // 0000000094BC: D3B14004 18026130
	v_pk_mul_f32 v[6:7], v[50:51], v[50:51]                    // 0000000094C4: D3B14006 18026532
	v_pk_fma_f32 v[4:5], v[4:5], s[78:79], v[8:9]              // 0000000094CC: D3B04004 1C209D04
	v_pk_fma_f32 v[6:7], v[6:7], s[78:79], v[8:9]              // 0000000094D4: D3B04006 1C209D06
	v_pk_mul_f32 v[4:5], v[4:5], v[48:49]                      // 0000000094DC: D3B14004 18026104
	v_pk_mul_f32 v[6:7], v[6:7], v[50:51]                      // 0000000094E4: D3B14006 18026506
	v_pk_mul_f32 v[4:5], v[4:5], s[60:61]                      // 0000000094EC: D3B14004 18007904
	v_pk_mul_f32 v[6:7], v[6:7], s[60:61]                      // 0000000094F4: D3B14006 18007906
	v_exp_f32_e32 v4, v4                                       // 0000000094FC: 7E084104
	v_exp_f32_e32 v5, v5                                       // 000000009500: 7E0A4105
	v_exp_f32_e32 v6, v6                                       // 000000009504: 7E0C4106
	v_exp_f32_e32 v7, v7                                       // 000000009508: 7E0E4107
	v_add_f32_e64 v4, v4, 1.0                                  // 00000000950C: D1010004 0001E504
	v_add_f32_e64 v5, v5, 1.0                                  // 000000009514: D1010005 0001E505
	v_add_f32_e64 v6, v6, 1.0                                  // 00000000951C: D1010006 0001E506
	v_add_f32_e64 v7, v7, 1.0                                  // 000000009524: D1010007 0001E507
	v_rcp_f32_e32 v4, v4                                       // 00000000952C: 7E084504
	v_rcp_f32_e32 v5, v5                                       // 000000009530: 7E0A4505
	v_rcp_f32_e32 v6, v6                                       // 000000009534: 7E0C4506
	v_rcp_f32_e32 v7, v7                                       // 000000009538: 7E0E4507
	v_mul_f32_e32 v48, v48, v4                                 // 00000000953C: 0A600930
	v_mul_f32_e32 v49, v49, v5                                 // 000000009540: 0A620B31
	v_mul_f32_e32 v50, v50, v6                                 // 000000009544: 0A640D32
	v_mul_f32_e32 v51, v51, v7                                 // 000000009548: 0A660F33
	v_mul_f32_e32 v48, v48, v80                                // 00000000954C: 0A60A130
	v_mul_f32_e32 v49, v49, v81                                // 000000009550: 0A62A331
	v_mul_f32_e32 v50, v50, v82                                // 000000009554: 0A64A532
	v_mul_f32_e32 v51, v51, v83                                // 000000009558: 0A66A733
	v_pk_mul_f32 v[4:5], v[52:53], v[52:53]                    // 00000000955C: D3B14004 18026934
	v_pk_mul_f32 v[6:7], v[54:55], v[54:55]                    // 000000009564: D3B14006 18026D36
	v_pk_fma_f32 v[4:5], v[4:5], s[78:79], v[8:9]              // 00000000956C: D3B04004 1C209D04
	v_pk_fma_f32 v[6:7], v[6:7], s[78:79], v[8:9]              // 000000009574: D3B04006 1C209D06
	v_pk_mul_f32 v[4:5], v[4:5], v[52:53]                      // 00000000957C: D3B14004 18026904
	v_pk_mul_f32 v[6:7], v[6:7], v[54:55]                      // 000000009584: D3B14006 18026D06
	v_pk_mul_f32 v[4:5], v[4:5], s[60:61]                      // 00000000958C: D3B14004 18007904
	v_pk_mul_f32 v[6:7], v[6:7], s[60:61]                      // 000000009594: D3B14006 18007906
	v_exp_f32_e32 v4, v4                                       // 00000000959C: 7E084104
	v_exp_f32_e32 v5, v5                                       // 0000000095A0: 7E0A4105
	v_exp_f32_e32 v6, v6                                       // 0000000095A4: 7E0C4106
	v_exp_f32_e32 v7, v7                                       // 0000000095A8: 7E0E4107
	v_add_f32_e64 v4, v4, 1.0                                  // 0000000095AC: D1010004 0001E504
	v_add_f32_e64 v5, v5, 1.0                                  // 0000000095B4: D1010005 0001E505
	v_add_f32_e64 v6, v6, 1.0                                  // 0000000095BC: D1010006 0001E506
	v_add_f32_e64 v7, v7, 1.0                                  // 0000000095C4: D1010007 0001E507
	v_rcp_f32_e32 v4, v4                                       // 0000000095CC: 7E084504
	v_rcp_f32_e32 v5, v5                                       // 0000000095D0: 7E0A4505
	v_rcp_f32_e32 v6, v6                                       // 0000000095D4: 7E0C4506
	v_rcp_f32_e32 v7, v7                                       // 0000000095D8: 7E0E4507
	v_mul_f32_e32 v52, v52, v4                                 // 0000000095DC: 0A680934
	v_mul_f32_e32 v53, v53, v5                                 // 0000000095E0: 0A6A0B35
	v_mul_f32_e32 v54, v54, v6                                 // 0000000095E4: 0A6C0D36
	v_mul_f32_e32 v55, v55, v7                                 // 0000000095E8: 0A6E0F37
	v_mul_f32_e32 v52, v52, v84                                // 0000000095EC: 0A68A934
	v_mul_f32_e32 v53, v53, v85                                // 0000000095F0: 0A6AAB35
	v_mul_f32_e32 v54, v54, v86                                // 0000000095F4: 0A6CAD36
	v_mul_f32_e32 v55, v55, v87                                // 0000000095F8: 0A6EAF37
	v_pk_mul_f32 v[4:5], v[56:57], v[56:57]                    // 0000000095FC: D3B14004 18027138
	v_pk_mul_f32 v[6:7], v[58:59], v[58:59]                    // 000000009604: D3B14006 1802753A
	v_pk_fma_f32 v[4:5], v[4:5], s[78:79], v[8:9]              // 00000000960C: D3B04004 1C209D04
	v_pk_fma_f32 v[6:7], v[6:7], s[78:79], v[8:9]              // 000000009614: D3B04006 1C209D06
	v_pk_mul_f32 v[4:5], v[4:5], v[56:57]                      // 00000000961C: D3B14004 18027104
	v_pk_mul_f32 v[6:7], v[6:7], v[58:59]                      // 000000009624: D3B14006 18027506
	v_pk_mul_f32 v[4:5], v[4:5], s[60:61]                      // 00000000962C: D3B14004 18007904
	v_pk_mul_f32 v[6:7], v[6:7], s[60:61]                      // 000000009634: D3B14006 18007906
	v_exp_f32_e32 v4, v4                                       // 00000000963C: 7E084104
	v_exp_f32_e32 v5, v5                                       // 000000009640: 7E0A4105
	v_exp_f32_e32 v6, v6                                       // 000000009644: 7E0C4106
	v_exp_f32_e32 v7, v7                                       // 000000009648: 7E0E4107
	v_add_f32_e64 v4, v4, 1.0                                  // 00000000964C: D1010004 0001E504
	v_add_f32_e64 v5, v5, 1.0                                  // 000000009654: D1010005 0001E505
	v_add_f32_e64 v6, v6, 1.0                                  // 00000000965C: D1010006 0001E506
	v_add_f32_e64 v7, v7, 1.0                                  // 000000009664: D1010007 0001E507
	v_rcp_f32_e32 v4, v4                                       // 00000000966C: 7E084504
	v_rcp_f32_e32 v5, v5                                       // 000000009670: 7E0A4505
	v_rcp_f32_e32 v6, v6                                       // 000000009674: 7E0C4506
	v_rcp_f32_e32 v7, v7                                       // 000000009678: 7E0E4507
	v_mul_f32_e32 v56, v56, v4                                 // 00000000967C: 0A700938
	v_mul_f32_e32 v57, v57, v5                                 // 000000009680: 0A720B39
	v_mul_f32_e32 v58, v58, v6                                 // 000000009684: 0A740D3A
	v_mul_f32_e32 v59, v59, v7                                 // 000000009688: 0A760F3B
	v_mul_f32_e32 v56, v56, v88                                // 00000000968C: 0A70B138
	v_mul_f32_e32 v57, v57, v89                                // 000000009690: 0A72B339
	v_mul_f32_e32 v58, v58, v90                                // 000000009694: 0A74B53A
	v_mul_f32_e32 v59, v59, v91                                // 000000009698: 0A76B73B
	v_pk_mul_f32 v[4:5], v[60:61], v[60:61]                    // 00000000969C: D3B14004 1802793C
	v_pk_mul_f32 v[6:7], v[62:63], v[62:63]                    // 0000000096A4: D3B14006 18027D3E
	v_pk_fma_f32 v[4:5], v[4:5], s[78:79], v[8:9]              // 0000000096AC: D3B04004 1C209D04
	v_pk_fma_f32 v[6:7], v[6:7], s[78:79], v[8:9]              // 0000000096B4: D3B04006 1C209D06
	v_pk_mul_f32 v[4:5], v[4:5], v[60:61]                      // 0000000096BC: D3B14004 18027904
	v_pk_mul_f32 v[6:7], v[6:7], v[62:63]                      // 0000000096C4: D3B14006 18027D06
	v_pk_mul_f32 v[4:5], v[4:5], s[60:61]                      // 0000000096CC: D3B14004 18007904
	v_pk_mul_f32 v[6:7], v[6:7], s[60:61]                      // 0000000096D4: D3B14006 18007906
	v_exp_f32_e32 v4, v4                                       // 0000000096DC: 7E084104
	v_exp_f32_e32 v5, v5                                       // 0000000096E0: 7E0A4105
	v_exp_f32_e32 v6, v6                                       // 0000000096E4: 7E0C4106
	v_exp_f32_e32 v7, v7                                       // 0000000096E8: 7E0E4107
	v_add_f32_e64 v4, v4, 1.0                                  // 0000000096EC: D1010004 0001E504
	v_add_f32_e64 v5, v5, 1.0                                  // 0000000096F4: D1010005 0001E505
	v_add_f32_e64 v6, v6, 1.0                                  // 0000000096FC: D1010006 0001E506
	v_add_f32_e64 v7, v7, 1.0                                  // 000000009704: D1010007 0001E507
	v_rcp_f32_e32 v4, v4                                       // 00000000970C: 7E084504
	v_rcp_f32_e32 v5, v5                                       // 000000009710: 7E0A4505
	v_rcp_f32_e32 v6, v6                                       // 000000009714: 7E0C4506
	v_rcp_f32_e32 v7, v7                                       // 000000009718: 7E0E4507
	v_mul_f32_e32 v60, v60, v4                                 // 00000000971C: 0A78093C
	v_mul_f32_e32 v61, v61, v5                                 // 000000009720: 0A7A0B3D
	v_mul_f32_e32 v62, v62, v6                                 // 000000009724: 0A7C0D3E
	v_mul_f32_e32 v63, v63, v7                                 // 000000009728: 0A7E0F3F
	v_mul_f32_e32 v60, v60, v92                                // 00000000972C: 0A78B93C
	v_mul_f32_e32 v61, v61, v93                                // 000000009730: 0A7ABB3D
	v_mul_f32_e32 v62, v62, v94                                // 000000009734: 0A7CBD3E
	v_mul_f32_e32 v63, v63, v95                                // 000000009738: 0A7EBF3F
	v_pk_mul_f32 v[4:5], v[64:65], v[64:65]                    // 00000000973C: D3B14004 18028140
	v_pk_mul_f32 v[6:7], v[66:67], v[66:67]                    // 000000009744: D3B14006 18028542
	v_pk_fma_f32 v[4:5], v[4:5], s[78:79], v[8:9]              // 00000000974C: D3B04004 1C209D04
	v_pk_fma_f32 v[6:7], v[6:7], s[78:79], v[8:9]              // 000000009754: D3B04006 1C209D06
	v_pk_mul_f32 v[4:5], v[4:5], v[64:65]                      // 00000000975C: D3B14004 18028104
	v_pk_mul_f32 v[6:7], v[6:7], v[66:67]                      // 000000009764: D3B14006 18028506
	v_pk_mul_f32 v[4:5], v[4:5], s[60:61]                      // 00000000976C: D3B14004 18007904
	v_pk_mul_f32 v[6:7], v[6:7], s[60:61]                      // 000000009774: D3B14006 18007906
	v_exp_f32_e32 v4, v4                                       // 00000000977C: 7E084104
	v_exp_f32_e32 v5, v5                                       // 000000009780: 7E0A4105
	v_exp_f32_e32 v6, v6                                       // 000000009784: 7E0C4106
	v_exp_f32_e32 v7, v7                                       // 000000009788: 7E0E4107
	v_add_f32_e64 v4, v4, 1.0                                  // 00000000978C: D1010004 0001E504
	v_add_f32_e64 v5, v5, 1.0                                  // 000000009794: D1010005 0001E505
	v_add_f32_e64 v6, v6, 1.0                                  // 00000000979C: D1010006 0001E506
	v_add_f32_e64 v7, v7, 1.0                                  // 0000000097A4: D1010007 0001E507
	v_rcp_f32_e32 v4, v4                                       // 0000000097AC: 7E084504
	v_rcp_f32_e32 v5, v5                                       // 0000000097B0: 7E0A4505
	v_rcp_f32_e32 v6, v6                                       // 0000000097B4: 7E0C4506
	v_rcp_f32_e32 v7, v7                                       // 0000000097B8: 7E0E4507
	v_mul_f32_e32 v64, v64, v4                                 // 0000000097BC: 0A800940
	v_mul_f32_e32 v65, v65, v5                                 // 0000000097C0: 0A820B41
	v_mul_f32_e32 v66, v66, v6                                 // 0000000097C4: 0A840D42
	v_mul_f32_e32 v67, v67, v7                                 // 0000000097C8: 0A860F43
	v_mul_f32_e32 v64, v64, v96                                // 0000000097CC: 0A80C140
	v_mul_f32_e32 v65, v65, v97                                // 0000000097D0: 0A82C341
	v_mul_f32_e32 v66, v66, v98                                // 0000000097D4: 0A84C542
	v_mul_f32_e32 v67, v67, v99                                // 0000000097D8: 0A86C743
	v_pk_mul_f32 v[4:5], v[68:69], v[68:69]                    // 0000000097DC: D3B14004 18028944
	v_pk_mul_f32 v[6:7], v[70:71], v[70:71]                    // 0000000097E4: D3B14006 18028D46
	v_pk_fma_f32 v[4:5], v[4:5], s[78:79], v[8:9]              // 0000000097EC: D3B04004 1C209D04
	v_pk_fma_f32 v[6:7], v[6:7], s[78:79], v[8:9]              // 0000000097F4: D3B04006 1C209D06
	v_pk_mul_f32 v[4:5], v[4:5], v[68:69]                      // 0000000097FC: D3B14004 18028904
	v_pk_mul_f32 v[6:7], v[6:7], v[70:71]                      // 000000009804: D3B14006 18028D06
	v_pk_mul_f32 v[4:5], v[4:5], s[60:61]                      // 00000000980C: D3B14004 18007904
	v_pk_mul_f32 v[6:7], v[6:7], s[60:61]                      // 000000009814: D3B14006 18007906
	v_exp_f32_e32 v4, v4                                       // 00000000981C: 7E084104
	v_exp_f32_e32 v5, v5                                       // 000000009820: 7E0A4105
	v_exp_f32_e32 v6, v6                                       // 000000009824: 7E0C4106
	v_exp_f32_e32 v7, v7                                       // 000000009828: 7E0E4107
	v_add_f32_e64 v4, v4, 1.0                                  // 00000000982C: D1010004 0001E504
	v_add_f32_e64 v5, v5, 1.0                                  // 000000009834: D1010005 0001E505
	v_add_f32_e64 v6, v6, 1.0                                  // 00000000983C: D1010006 0001E506
	v_add_f32_e64 v7, v7, 1.0                                  // 000000009844: D1010007 0001E507
	v_rcp_f32_e32 v4, v4                                       // 00000000984C: 7E084504
	v_rcp_f32_e32 v5, v5                                       // 000000009850: 7E0A4505
	v_rcp_f32_e32 v6, v6                                       // 000000009854: 7E0C4506
	v_rcp_f32_e32 v7, v7                                       // 000000009858: 7E0E4507
	v_mul_f32_e32 v68, v68, v4                                 // 00000000985C: 0A880944
	v_mul_f32_e32 v69, v69, v5                                 // 000000009860: 0A8A0B45
	v_mul_f32_e32 v70, v70, v6                                 // 000000009864: 0A8C0D46
	v_mul_f32_e32 v71, v71, v7                                 // 000000009868: 0A8E0F47
	v_mul_f32_e32 v68, v68, v100                               // 00000000986C: 0A88C944
	v_mul_f32_e32 v69, v69, v101                               // 000000009870: 0A8ACB45
	v_mul_f32_e32 v70, v70, v102                               // 000000009874: 0A8CCD46
	v_mul_f32_e32 v71, v71, v103                               // 000000009878: 0A8ECF47
	v_pk_mul_f32 v[4:5], v[72:73], v[72:73]                    // 00000000987C: D3B14004 18029148
	v_pk_mul_f32 v[6:7], v[74:75], v[74:75]                    // 000000009884: D3B14006 1802954A
	v_pk_fma_f32 v[4:5], v[4:5], s[78:79], v[8:9]              // 00000000988C: D3B04004 1C209D04
	v_pk_fma_f32 v[6:7], v[6:7], s[78:79], v[8:9]              // 000000009894: D3B04006 1C209D06
	v_pk_mul_f32 v[4:5], v[4:5], v[72:73]                      // 00000000989C: D3B14004 18029104
	v_pk_mul_f32 v[6:7], v[6:7], v[74:75]                      // 0000000098A4: D3B14006 18029506
	v_pk_mul_f32 v[4:5], v[4:5], s[60:61]                      // 0000000098AC: D3B14004 18007904
	v_pk_mul_f32 v[6:7], v[6:7], s[60:61]                      // 0000000098B4: D3B14006 18007906
	v_exp_f32_e32 v4, v4                                       // 0000000098BC: 7E084104
	v_exp_f32_e32 v5, v5                                       // 0000000098C0: 7E0A4105
	v_exp_f32_e32 v6, v6                                       // 0000000098C4: 7E0C4106
	v_exp_f32_e32 v7, v7                                       // 0000000098C8: 7E0E4107
	v_add_f32_e64 v4, v4, 1.0                                  // 0000000098CC: D1010004 0001E504
	v_add_f32_e64 v5, v5, 1.0                                  // 0000000098D4: D1010005 0001E505
	v_add_f32_e64 v6, v6, 1.0                                  // 0000000098DC: D1010006 0001E506
	v_add_f32_e64 v7, v7, 1.0                                  // 0000000098E4: D1010007 0001E507
	v_rcp_f32_e32 v4, v4                                       // 0000000098EC: 7E084504
	v_rcp_f32_e32 v5, v5                                       // 0000000098F0: 7E0A4505
	v_rcp_f32_e32 v6, v6                                       // 0000000098F4: 7E0C4506
	v_rcp_f32_e32 v7, v7                                       // 0000000098F8: 7E0E4507
	v_mul_f32_e32 v72, v72, v4                                 // 0000000098FC: 0A900948
	v_mul_f32_e32 v73, v73, v5                                 // 000000009900: 0A920B49
	v_mul_f32_e32 v74, v74, v6                                 // 000000009904: 0A940D4A
	v_mul_f32_e32 v75, v75, v7                                 // 000000009908: 0A960F4B
	v_mul_f32_e32 v72, v72, v104                               // 00000000990C: 0A90D148
	v_mul_f32_e32 v73, v73, v105                               // 000000009910: 0A92D349
	v_mul_f32_e32 v74, v74, v106                               // 000000009914: 0A94D54A
	v_mul_f32_e32 v75, v75, v107                               // 000000009918: 0A96D74B
	s_branch label_1CCB                                        // 00000000991C: BF820100

0000000000009920 <label_1BCB>:
	v_mul_f32_e64 v4, -v44, s6                                 // 000000009920: D1050004 20000D2C
	v_mul_f32_e64 v5, -v45, s6                                 // 000000009928: D1050005 20000D2D
	v_mul_f32_e64 v6, -v46, s6                                 // 000000009930: D1050006 20000D2E
	v_mul_f32_e64 v7, -v47, s6                                 // 000000009938: D1050007 20000D2F
	v_exp_f32_e32 v4, v4                                       // 000000009940: 7E084104
	v_exp_f32_e32 v5, v5                                       // 000000009944: 7E0A4105
	v_exp_f32_e32 v6, v6                                       // 000000009948: 7E0C4106
	v_exp_f32_e32 v7, v7                                       // 00000000994C: 7E0E4107
	v_add_f32_e64 v4, v4, 1.0                                  // 000000009950: D1010004 0001E504
	v_add_f32_e64 v5, v5, 1.0                                  // 000000009958: D1010005 0001E505
	v_add_f32_e64 v6, v6, 1.0                                  // 000000009960: D1010006 0001E506
	v_add_f32_e64 v7, v7, 1.0                                  // 000000009968: D1010007 0001E507
	v_rcp_f32_e32 v4, v4                                       // 000000009970: 7E084504
	v_rcp_f32_e32 v5, v5                                       // 000000009974: 7E0A4505
	v_rcp_f32_e32 v6, v6                                       // 000000009978: 7E0C4506
	v_rcp_f32_e32 v7, v7                                       // 00000000997C: 7E0E4507
	v_mul_f32_e32 v44, v44, v4                                 // 000000009980: 0A58092C
	v_mul_f32_e32 v45, v45, v5                                 // 000000009984: 0A5A0B2D
	v_mul_f32_e32 v46, v46, v6                                 // 000000009988: 0A5C0D2E
	v_mul_f32_e32 v47, v47, v7                                 // 00000000998C: 0A5E0F2F
	v_mul_f32_e32 v44, v44, v76                                // 000000009990: 0A58992C
	v_mul_f32_e32 v45, v45, v77                                // 000000009994: 0A5A9B2D
	v_mul_f32_e32 v46, v46, v78                                // 000000009998: 0A5C9D2E
	v_mul_f32_e32 v47, v47, v79                                // 00000000999C: 0A5E9F2F
	v_mul_f32_e64 v4, -v48, s6                                 // 0000000099A0: D1050004 20000D30
	v_mul_f32_e64 v5, -v49, s6                                 // 0000000099A8: D1050005 20000D31
	v_mul_f32_e64 v6, -v50, s6                                 // 0000000099B0: D1050006 20000D32
	v_mul_f32_e64 v7, -v51, s6                                 // 0000000099B8: D1050007 20000D33
	v_exp_f32_e32 v4, v4                                       // 0000000099C0: 7E084104
	v_exp_f32_e32 v5, v5                                       // 0000000099C4: 7E0A4105
	v_exp_f32_e32 v6, v6                                       // 0000000099C8: 7E0C4106
	v_exp_f32_e32 v7, v7                                       // 0000000099CC: 7E0E4107
	v_add_f32_e64 v4, v4, 1.0                                  // 0000000099D0: D1010004 0001E504
	v_add_f32_e64 v5, v5, 1.0                                  // 0000000099D8: D1010005 0001E505
	v_add_f32_e64 v6, v6, 1.0                                  // 0000000099E0: D1010006 0001E506
	v_add_f32_e64 v7, v7, 1.0                                  // 0000000099E8: D1010007 0001E507
	v_rcp_f32_e32 v4, v4                                       // 0000000099F0: 7E084504
	v_rcp_f32_e32 v5, v5                                       // 0000000099F4: 7E0A4505
	v_rcp_f32_e32 v6, v6                                       // 0000000099F8: 7E0C4506
	v_rcp_f32_e32 v7, v7                                       // 0000000099FC: 7E0E4507
	v_mul_f32_e32 v48, v48, v4                                 // 000000009A00: 0A600930
	v_mul_f32_e32 v49, v49, v5                                 // 000000009A04: 0A620B31
	v_mul_f32_e32 v50, v50, v6                                 // 000000009A08: 0A640D32
	v_mul_f32_e32 v51, v51, v7                                 // 000000009A0C: 0A660F33
	v_mul_f32_e32 v48, v48, v80                                // 000000009A10: 0A60A130
	v_mul_f32_e32 v49, v49, v81                                // 000000009A14: 0A62A331
	v_mul_f32_e32 v50, v50, v82                                // 000000009A18: 0A64A532
	v_mul_f32_e32 v51, v51, v83                                // 000000009A1C: 0A66A733
	v_mul_f32_e64 v4, -v52, s6                                 // 000000009A20: D1050004 20000D34
	v_mul_f32_e64 v5, -v53, s6                                 // 000000009A28: D1050005 20000D35
	v_mul_f32_e64 v6, -v54, s6                                 // 000000009A30: D1050006 20000D36
	v_mul_f32_e64 v7, -v55, s6                                 // 000000009A38: D1050007 20000D37
	v_exp_f32_e32 v4, v4                                       // 000000009A40: 7E084104
	v_exp_f32_e32 v5, v5                                       // 000000009A44: 7E0A4105
	v_exp_f32_e32 v6, v6                                       // 000000009A48: 7E0C4106
	v_exp_f32_e32 v7, v7                                       // 000000009A4C: 7E0E4107
	v_add_f32_e64 v4, v4, 1.0                                  // 000000009A50: D1010004 0001E504
	v_add_f32_e64 v5, v5, 1.0                                  // 000000009A58: D1010005 0001E505
	v_add_f32_e64 v6, v6, 1.0                                  // 000000009A60: D1010006 0001E506
	v_add_f32_e64 v7, v7, 1.0                                  // 000000009A68: D1010007 0001E507
	v_rcp_f32_e32 v4, v4                                       // 000000009A70: 7E084504
	v_rcp_f32_e32 v5, v5                                       // 000000009A74: 7E0A4505
	v_rcp_f32_e32 v6, v6                                       // 000000009A78: 7E0C4506
	v_rcp_f32_e32 v7, v7                                       // 000000009A7C: 7E0E4507
	v_mul_f32_e32 v52, v52, v4                                 // 000000009A80: 0A680934
	v_mul_f32_e32 v53, v53, v5                                 // 000000009A84: 0A6A0B35
	v_mul_f32_e32 v54, v54, v6                                 // 000000009A88: 0A6C0D36
	v_mul_f32_e32 v55, v55, v7                                 // 000000009A8C: 0A6E0F37
	v_mul_f32_e32 v52, v52, v84                                // 000000009A90: 0A68A934
	v_mul_f32_e32 v53, v53, v85                                // 000000009A94: 0A6AAB35
	v_mul_f32_e32 v54, v54, v86                                // 000000009A98: 0A6CAD36
	v_mul_f32_e32 v55, v55, v87                                // 000000009A9C: 0A6EAF37
	v_mul_f32_e64 v4, -v56, s6                                 // 000000009AA0: D1050004 20000D38
	v_mul_f32_e64 v5, -v57, s6                                 // 000000009AA8: D1050005 20000D39
	v_mul_f32_e64 v6, -v58, s6                                 // 000000009AB0: D1050006 20000D3A
	v_mul_f32_e64 v7, -v59, s6                                 // 000000009AB8: D1050007 20000D3B
	v_exp_f32_e32 v4, v4                                       // 000000009AC0: 7E084104
	v_exp_f32_e32 v5, v5                                       // 000000009AC4: 7E0A4105
	v_exp_f32_e32 v6, v6                                       // 000000009AC8: 7E0C4106
	v_exp_f32_e32 v7, v7                                       // 000000009ACC: 7E0E4107
	v_add_f32_e64 v4, v4, 1.0                                  // 000000009AD0: D1010004 0001E504
	v_add_f32_e64 v5, v5, 1.0                                  // 000000009AD8: D1010005 0001E505
	v_add_f32_e64 v6, v6, 1.0                                  // 000000009AE0: D1010006 0001E506
	v_add_f32_e64 v7, v7, 1.0                                  // 000000009AE8: D1010007 0001E507
	v_rcp_f32_e32 v4, v4                                       // 000000009AF0: 7E084504
	v_rcp_f32_e32 v5, v5                                       // 000000009AF4: 7E0A4505
	v_rcp_f32_e32 v6, v6                                       // 000000009AF8: 7E0C4506
	v_rcp_f32_e32 v7, v7                                       // 000000009AFC: 7E0E4507
	v_mul_f32_e32 v56, v56, v4                                 // 000000009B00: 0A700938
	v_mul_f32_e32 v57, v57, v5                                 // 000000009B04: 0A720B39
	v_mul_f32_e32 v58, v58, v6                                 // 000000009B08: 0A740D3A
	v_mul_f32_e32 v59, v59, v7                                 // 000000009B0C: 0A760F3B
	v_mul_f32_e32 v56, v56, v88                                // 000000009B10: 0A70B138
	v_mul_f32_e32 v57, v57, v89                                // 000000009B14: 0A72B339
	v_mul_f32_e32 v58, v58, v90                                // 000000009B18: 0A74B53A
	v_mul_f32_e32 v59, v59, v91                                // 000000009B1C: 0A76B73B
	v_mul_f32_e64 v4, -v60, s6                                 // 000000009B20: D1050004 20000D3C
	v_mul_f32_e64 v5, -v61, s6                                 // 000000009B28: D1050005 20000D3D
	v_mul_f32_e64 v6, -v62, s6                                 // 000000009B30: D1050006 20000D3E
	v_mul_f32_e64 v7, -v63, s6                                 // 000000009B38: D1050007 20000D3F
	v_exp_f32_e32 v4, v4                                       // 000000009B40: 7E084104
	v_exp_f32_e32 v5, v5                                       // 000000009B44: 7E0A4105
	v_exp_f32_e32 v6, v6                                       // 000000009B48: 7E0C4106
	v_exp_f32_e32 v7, v7                                       // 000000009B4C: 7E0E4107
	v_add_f32_e64 v4, v4, 1.0                                  // 000000009B50: D1010004 0001E504
	v_add_f32_e64 v5, v5, 1.0                                  // 000000009B58: D1010005 0001E505
	v_add_f32_e64 v6, v6, 1.0                                  // 000000009B60: D1010006 0001E506
	v_add_f32_e64 v7, v7, 1.0                                  // 000000009B68: D1010007 0001E507
	v_rcp_f32_e32 v4, v4                                       // 000000009B70: 7E084504
	v_rcp_f32_e32 v5, v5                                       // 000000009B74: 7E0A4505
	v_rcp_f32_e32 v6, v6                                       // 000000009B78: 7E0C4506
	v_rcp_f32_e32 v7, v7                                       // 000000009B7C: 7E0E4507
	v_mul_f32_e32 v60, v60, v4                                 // 000000009B80: 0A78093C
	v_mul_f32_e32 v61, v61, v5                                 // 000000009B84: 0A7A0B3D
	v_mul_f32_e32 v62, v62, v6                                 // 000000009B88: 0A7C0D3E
	v_mul_f32_e32 v63, v63, v7                                 // 000000009B8C: 0A7E0F3F
	v_mul_f32_e32 v60, v60, v92                                // 000000009B90: 0A78B93C
	v_mul_f32_e32 v61, v61, v93                                // 000000009B94: 0A7ABB3D
	v_mul_f32_e32 v62, v62, v94                                // 000000009B98: 0A7CBD3E
	v_mul_f32_e32 v63, v63, v95                                // 000000009B9C: 0A7EBF3F
	v_mul_f32_e64 v4, -v64, s6                                 // 000000009BA0: D1050004 20000D40
	v_mul_f32_e64 v5, -v65, s6                                 // 000000009BA8: D1050005 20000D41
	v_mul_f32_e64 v6, -v66, s6                                 // 000000009BB0: D1050006 20000D42
	v_mul_f32_e64 v7, -v67, s6                                 // 000000009BB8: D1050007 20000D43
	v_exp_f32_e32 v4, v4                                       // 000000009BC0: 7E084104
	v_exp_f32_e32 v5, v5                                       // 000000009BC4: 7E0A4105
	v_exp_f32_e32 v6, v6                                       // 000000009BC8: 7E0C4106
	v_exp_f32_e32 v7, v7                                       // 000000009BCC: 7E0E4107
	v_add_f32_e64 v4, v4, 1.0                                  // 000000009BD0: D1010004 0001E504
	v_add_f32_e64 v5, v5, 1.0                                  // 000000009BD8: D1010005 0001E505
	v_add_f32_e64 v6, v6, 1.0                                  // 000000009BE0: D1010006 0001E506
	v_add_f32_e64 v7, v7, 1.0                                  // 000000009BE8: D1010007 0001E507
	v_rcp_f32_e32 v4, v4                                       // 000000009BF0: 7E084504
	v_rcp_f32_e32 v5, v5                                       // 000000009BF4: 7E0A4505
	v_rcp_f32_e32 v6, v6                                       // 000000009BF8: 7E0C4506
	v_rcp_f32_e32 v7, v7                                       // 000000009BFC: 7E0E4507
	v_mul_f32_e32 v64, v64, v4                                 // 000000009C00: 0A800940
	v_mul_f32_e32 v65, v65, v5                                 // 000000009C04: 0A820B41
	v_mul_f32_e32 v66, v66, v6                                 // 000000009C08: 0A840D42
	v_mul_f32_e32 v67, v67, v7                                 // 000000009C0C: 0A860F43
	v_mul_f32_e32 v64, v64, v96                                // 000000009C10: 0A80C140
	v_mul_f32_e32 v65, v65, v97                                // 000000009C14: 0A82C341
	v_mul_f32_e32 v66, v66, v98                                // 000000009C18: 0A84C542
	v_mul_f32_e32 v67, v67, v99                                // 000000009C1C: 0A86C743
	v_mul_f32_e64 v4, -v68, s6                                 // 000000009C20: D1050004 20000D44
	v_mul_f32_e64 v5, -v69, s6                                 // 000000009C28: D1050005 20000D45
	v_mul_f32_e64 v6, -v70, s6                                 // 000000009C30: D1050006 20000D46
	v_mul_f32_e64 v7, -v71, s6                                 // 000000009C38: D1050007 20000D47
	v_exp_f32_e32 v4, v4                                       // 000000009C40: 7E084104
	v_exp_f32_e32 v5, v5                                       // 000000009C44: 7E0A4105
	v_exp_f32_e32 v6, v6                                       // 000000009C48: 7E0C4106
	v_exp_f32_e32 v7, v7                                       // 000000009C4C: 7E0E4107
	v_add_f32_e64 v4, v4, 1.0                                  // 000000009C50: D1010004 0001E504
	v_add_f32_e64 v5, v5, 1.0                                  // 000000009C58: D1010005 0001E505
	v_add_f32_e64 v6, v6, 1.0                                  // 000000009C60: D1010006 0001E506
	v_add_f32_e64 v7, v7, 1.0                                  // 000000009C68: D1010007 0001E507
	v_rcp_f32_e32 v4, v4                                       // 000000009C70: 7E084504
	v_rcp_f32_e32 v5, v5                                       // 000000009C74: 7E0A4505
	v_rcp_f32_e32 v6, v6                                       // 000000009C78: 7E0C4506
	v_rcp_f32_e32 v7, v7                                       // 000000009C7C: 7E0E4507
	v_mul_f32_e32 v68, v68, v4                                 // 000000009C80: 0A880944
	v_mul_f32_e32 v69, v69, v5                                 // 000000009C84: 0A8A0B45
	v_mul_f32_e32 v70, v70, v6                                 // 000000009C88: 0A8C0D46
	v_mul_f32_e32 v71, v71, v7                                 // 000000009C8C: 0A8E0F47
	v_mul_f32_e32 v68, v68, v100                               // 000000009C90: 0A88C944
	v_mul_f32_e32 v69, v69, v101                               // 000000009C94: 0A8ACB45
	v_mul_f32_e32 v70, v70, v102                               // 000000009C98: 0A8CCD46
	v_mul_f32_e32 v71, v71, v103                               // 000000009C9C: 0A8ECF47
	v_mul_f32_e64 v4, -v72, s6                                 // 000000009CA0: D1050004 20000D48
	v_mul_f32_e64 v5, -v73, s6                                 // 000000009CA8: D1050005 20000D49
	v_mul_f32_e64 v6, -v74, s6                                 // 000000009CB0: D1050006 20000D4A
	v_mul_f32_e64 v7, -v75, s6                                 // 000000009CB8: D1050007 20000D4B
	v_exp_f32_e32 v4, v4                                       // 000000009CC0: 7E084104
	v_exp_f32_e32 v5, v5                                       // 000000009CC4: 7E0A4105
	v_exp_f32_e32 v6, v6                                       // 000000009CC8: 7E0C4106
	v_exp_f32_e32 v7, v7                                       // 000000009CCC: 7E0E4107
	v_add_f32_e64 v4, v4, 1.0                                  // 000000009CD0: D1010004 0001E504
	v_add_f32_e64 v5, v5, 1.0                                  // 000000009CD8: D1010005 0001E505
	v_add_f32_e64 v6, v6, 1.0                                  // 000000009CE0: D1010006 0001E506
	v_add_f32_e64 v7, v7, 1.0                                  // 000000009CE8: D1010007 0001E507
	v_rcp_f32_e32 v4, v4                                       // 000000009CF0: 7E084504
	v_rcp_f32_e32 v5, v5                                       // 000000009CF4: 7E0A4505
	v_rcp_f32_e32 v6, v6                                       // 000000009CF8: 7E0C4506
	v_rcp_f32_e32 v7, v7                                       // 000000009CFC: 7E0E4507
	v_mul_f32_e32 v72, v72, v4                                 // 000000009D00: 0A900948
	v_mul_f32_e32 v73, v73, v5                                 // 000000009D04: 0A920B49
	v_mul_f32_e32 v74, v74, v6                                 // 000000009D08: 0A940D4A
	v_mul_f32_e32 v75, v75, v7                                 // 000000009D0C: 0A960F4B
	v_mul_f32_e32 v72, v72, v104                               // 000000009D10: 0A90D148
	v_mul_f32_e32 v73, v73, v105                               // 000000009D14: 0A92D349
	v_mul_f32_e32 v74, v74, v106                               // 000000009D18: 0A94D54A
	v_mul_f32_e32 v75, v75, v107                               // 000000009D1C: 0A96D74B

0000000000009d20 <label_1CCB>:
	s_cmp_eq_u32 s7, 0                                         // 000000009D20: BF068007
	s_cbranch_scc0 label_1CD2                                  // 000000009D24: BF840005
	v_and_b32_e32 v4, 15, v0                                   // 000000009D28: 2608008F
	v_lshlrev_b32_e32 v4, 2, v4                                // 000000009D2C: 24080882
	buffer_load_dword v30, v4, s[12:15], 0 offen               // 000000009D30: E0501000 80031E04
	v_add_u32_e32 v4, 64, v4                                   // 000000009D38: 680808C0

0000000000009d3c <label_1CD2>:
	v_lshlrev_b32_e32 v4, 2, v0                                // 000000009D3C: 24080082
	s_mul_i32 s60, 0x100, s7                                   // 000000009D40: 923C07FF 00000100
	v_add_u32_e32 v80, s60, v4                                 // 000000009D48: 68A0083C
	v_and_b32_e32 v4, 15, v0                                   // 000000009D4C: 2608008F
	v_lshlrev_b32_e32 v81, 2, v4                               // 000000009D50: 24A20882
	s_waitcnt lgkmcnt(0)                                       // 000000009D54: BF8CC07F
	s_barrier                                                  // 000000009D58: BF8A0000
	v_mov_b32_e32 v76, 0x358637bd                              // 000000009D5C: 7E9802FF 358637BD
	v_max3_f32 v76, |v44|, |v45|, v76                          // 000000009D64: D1D3034C 05325B2C
	v_max3_f32 v76, |v46|, |v47|, v76                          // 000000009D6C: D1D3034C 05325F2E
	v_max3_f32 v76, |v48|, |v49|, v76                          // 000000009D74: D1D3034C 05326330
	v_max3_f32 v76, |v50|, |v51|, v76                          // 000000009D7C: D1D3034C 05326732
	ds_write_b32 v80, v76                                      // 000000009D84: D81A0000 00004C50
	s_waitcnt lgkmcnt(0)                                       // 000000009D8C: BF8CC07F
	s_barrier                                                  // 000000009D90: BF8A0000
	ds_read_b32 v4, v81                                        // 000000009D94: D86C0000 04000051
	ds_read_b32 v5, v81 offset:64                              // 000000009D9C: D86C0040 05000051
	ds_read_b32 v6, v81 offset:128                             // 000000009DA4: D86C0080 06000051
	ds_read_b32 v7, v81 offset:192                             // 000000009DAC: D86C00C0 07000051
	ds_read_b32 v8, v81 offset:256                             // 000000009DB4: D86C0100 08000051
	ds_read_b32 v9, v81 offset:320                             // 000000009DBC: D86C0140 09000051
	ds_read_b32 v10, v81 offset:384                            // 000000009DC4: D86C0180 0A000051
	ds_read_b32 v11, v81 offset:448                            // 000000009DCC: D86C01C0 0B000051
	ds_read_b32 v12, v81 offset:512                            // 000000009DD4: D86C0200 0C000051
	ds_read_b32 v13, v81 offset:576                            // 000000009DDC: D86C0240 0D000051
	ds_read_b32 v14, v81 offset:640                            // 000000009DE4: D86C0280 0E000051
	ds_read_b32 v15, v81 offset:704                            // 000000009DEC: D86C02C0 0F000051
	ds_read_b32 v16, v81 offset:768                            // 000000009DF4: D86C0300 10000051
	ds_read_b32 v17, v81 offset:832                            // 000000009DFC: D86C0340 11000051
	ds_read_b32 v18, v81 offset:896                            // 000000009E04: D86C0380 12000051
	ds_read_b32 v19, v81 offset:960                            // 000000009E0C: D86C03C0 13000051
	s_waitcnt lgkmcnt(0)                                       // 000000009E14: BF8CC07F
	s_barrier                                                  // 000000009E18: BF8A0000
	v_max3_f32 v76, |v4|, |v5|, v76                            // 000000009E1C: D1D3034C 05320B04
	v_max3_f32 v76, |v6|, |v7|, v76                            // 000000009E24: D1D3034C 05320F06
	v_max3_f32 v76, |v8|, |v9|, v76                            // 000000009E2C: D1D3034C 05321308
	v_max3_f32 v76, |v10|, |v11|, v76                          // 000000009E34: D1D3034C 0532170A
	v_max3_f32 v76, |v12|, |v13|, v76                          // 000000009E3C: D1D3034C 05321B0C
	v_max3_f32 v76, |v14|, |v15|, v76                          // 000000009E44: D1D3034C 05321F0E
	v_max3_f32 v76, |v16|, |v17|, v76                          // 000000009E4C: D1D3034C 05322310
	v_max3_f32 v76, |v18|, |v19|, v76                          // 000000009E54: D1D3034C 05322712
	v_rcp_f32_e32 v76, v76                                     // 000000009E5C: 7E98454C
	v_mov_b32_e32 v4, 0x43700000                               // 000000009E60: 7E0802FF 43700000
	v_mul_f32_e32 v76, v4, v76                                 // 000000009E68: 0A989904
	v_mov_b32_e32 v4, v76                                      // 000000009E6C: 7E08034C
	v_mov_b32_e32 v5, v4                                       // 000000009E70: 7E0A0304
	v_pk_mul_f32 v[44:45], v[4:5], v[44:45]                    // 000000009E74: D3B1402C 18025904
	v_pk_mul_f32 v[46:47], v[4:5], v[46:47]                    // 000000009E7C: D3B1402E 18025D04
	v_cvt_pk_fp8_f32 v44, v44, v45                             // 000000009E84: D2A2002C 00025B2C
	v_cvt_pk_fp8_f32 v44, v46, v47 op_sel:[0,0,1]              // 000000009E8C: D2A2402C 00025F2E
	v_pk_mul_f32 v[48:49], v[4:5], v[48:49]                    // 000000009E94: D3B14030 18026104
	v_pk_mul_f32 v[50:51], v[4:5], v[50:51]                    // 000000009E9C: D3B14032 18026504
	v_cvt_pk_fp8_f32 v48, v48, v49                             // 000000009EA4: D2A20030 00026330
	v_cvt_pk_fp8_f32 v48, v50, v51 op_sel:[0,0,1]              // 000000009EAC: D2A24030 00026732
	v_rcp_f32_e32 v76, v76                                     // 000000009EB4: 7E98454C
	v_mov_b32_e32 v77, 0x358637bd                              // 000000009EB8: 7E9A02FF 358637BD
	v_max3_f32 v77, |v52|, |v53|, v77                          // 000000009EC0: D1D3034D 05366B34
	v_max3_f32 v77, |v54|, |v55|, v77                          // 000000009EC8: D1D3034D 05366F36
	v_max3_f32 v77, |v56|, |v57|, v77                          // 000000009ED0: D1D3034D 05367338
	v_max3_f32 v77, |v58|, |v59|, v77                          // 000000009ED8: D1D3034D 0536773A
	ds_write_b32 v80, v77                                      // 000000009EE0: D81A0000 00004D50
	s_waitcnt lgkmcnt(0)                                       // 000000009EE8: BF8CC07F
	s_barrier                                                  // 000000009EEC: BF8A0000
	ds_read_b32 v4, v81                                        // 000000009EF0: D86C0000 04000051
	ds_read_b32 v5, v81 offset:64                              // 000000009EF8: D86C0040 05000051
	ds_read_b32 v6, v81 offset:128                             // 000000009F00: D86C0080 06000051
	ds_read_b32 v7, v81 offset:192                             // 000000009F08: D86C00C0 07000051
	ds_read_b32 v8, v81 offset:256                             // 000000009F10: D86C0100 08000051
	ds_read_b32 v9, v81 offset:320                             // 000000009F18: D86C0140 09000051
	ds_read_b32 v10, v81 offset:384                            // 000000009F20: D86C0180 0A000051
	ds_read_b32 v11, v81 offset:448                            // 000000009F28: D86C01C0 0B000051
	ds_read_b32 v12, v81 offset:512                            // 000000009F30: D86C0200 0C000051
	ds_read_b32 v13, v81 offset:576                            // 000000009F38: D86C0240 0D000051
	ds_read_b32 v14, v81 offset:640                            // 000000009F40: D86C0280 0E000051
	ds_read_b32 v15, v81 offset:704                            // 000000009F48: D86C02C0 0F000051
	ds_read_b32 v16, v81 offset:768                            // 000000009F50: D86C0300 10000051
	ds_read_b32 v17, v81 offset:832                            // 000000009F58: D86C0340 11000051
	ds_read_b32 v18, v81 offset:896                            // 000000009F60: D86C0380 12000051
	ds_read_b32 v19, v81 offset:960                            // 000000009F68: D86C03C0 13000051
	s_waitcnt lgkmcnt(0)                                       // 000000009F70: BF8CC07F
	s_barrier                                                  // 000000009F74: BF8A0000
	v_max3_f32 v77, |v4|, |v5|, v77                            // 000000009F78: D1D3034D 05360B04
	v_max3_f32 v77, |v6|, |v7|, v77                            // 000000009F80: D1D3034D 05360F06
	v_max3_f32 v77, |v8|, |v9|, v77                            // 000000009F88: D1D3034D 05361308
	v_max3_f32 v77, |v10|, |v11|, v77                          // 000000009F90: D1D3034D 0536170A
	v_max3_f32 v77, |v12|, |v13|, v77                          // 000000009F98: D1D3034D 05361B0C
	v_max3_f32 v77, |v14|, |v15|, v77                          // 000000009FA0: D1D3034D 05361F0E
	v_max3_f32 v77, |v16|, |v17|, v77                          // 000000009FA8: D1D3034D 05362310
	v_max3_f32 v77, |v18|, |v19|, v77                          // 000000009FB0: D1D3034D 05362712
	v_rcp_f32_e32 v77, v77                                     // 000000009FB8: 7E9A454D
	v_mov_b32_e32 v4, 0x43700000                               // 000000009FBC: 7E0802FF 43700000
	v_mul_f32_e32 v77, v4, v77                                 // 000000009FC4: 0A9A9B04
	v_mov_b32_e32 v4, v77                                      // 000000009FC8: 7E08034D
	v_mov_b32_e32 v5, v4                                       // 000000009FCC: 7E0A0304
	v_pk_mul_f32 v[52:53], v[4:5], v[52:53]                    // 000000009FD0: D3B14034 18026904
	v_pk_mul_f32 v[54:55], v[4:5], v[54:55]                    // 000000009FD8: D3B14036 18026D04
	v_cvt_pk_fp8_f32 v52, v52, v53                             // 000000009FE0: D2A20034 00026B34
	v_cvt_pk_fp8_f32 v52, v54, v55 op_sel:[0,0,1]              // 000000009FE8: D2A24034 00026F36
	v_pk_mul_f32 v[56:57], v[4:5], v[56:57]                    // 000000009FF0: D3B14038 18027104
	v_pk_mul_f32 v[58:59], v[4:5], v[58:59]                    // 000000009FF8: D3B1403A 18027504
	v_cvt_pk_fp8_f32 v56, v56, v57                             // 00000000A000: D2A20038 00027338
	v_cvt_pk_fp8_f32 v56, v58, v59 op_sel:[0,0,1]              // 00000000A008: D2A24038 0002773A
	v_rcp_f32_e32 v77, v77                                     // 00000000A010: 7E9A454D
	v_mov_b32_e32 v78, 0x358637bd                              // 00000000A014: 7E9C02FF 358637BD
	v_max3_f32 v78, |v60|, |v61|, v78                          // 00000000A01C: D1D3034E 053A7B3C
	v_max3_f32 v78, |v62|, |v63|, v78                          // 00000000A024: D1D3034E 053A7F3E
	v_max3_f32 v78, |v64|, |v65|, v78                          // 00000000A02C: D1D3034E 053A8340
	v_max3_f32 v78, |v66|, |v67|, v78                          // 00000000A034: D1D3034E 053A8742
	ds_write_b32 v80, v78                                      // 00000000A03C: D81A0000 00004E50
	s_waitcnt lgkmcnt(0)                                       // 00000000A044: BF8CC07F
	s_barrier                                                  // 00000000A048: BF8A0000
	ds_read_b32 v4, v81                                        // 00000000A04C: D86C0000 04000051
	ds_read_b32 v5, v81 offset:64                              // 00000000A054: D86C0040 05000051
	ds_read_b32 v6, v81 offset:128                             // 00000000A05C: D86C0080 06000051
	ds_read_b32 v7, v81 offset:192                             // 00000000A064: D86C00C0 07000051
	ds_read_b32 v8, v81 offset:256                             // 00000000A06C: D86C0100 08000051
	ds_read_b32 v9, v81 offset:320                             // 00000000A074: D86C0140 09000051
	ds_read_b32 v10, v81 offset:384                            // 00000000A07C: D86C0180 0A000051
	ds_read_b32 v11, v81 offset:448                            // 00000000A084: D86C01C0 0B000051
	ds_read_b32 v12, v81 offset:512                            // 00000000A08C: D86C0200 0C000051
	ds_read_b32 v13, v81 offset:576                            // 00000000A094: D86C0240 0D000051
	ds_read_b32 v14, v81 offset:640                            // 00000000A09C: D86C0280 0E000051
	ds_read_b32 v15, v81 offset:704                            // 00000000A0A4: D86C02C0 0F000051
	ds_read_b32 v16, v81 offset:768                            // 00000000A0AC: D86C0300 10000051
	ds_read_b32 v17, v81 offset:832                            // 00000000A0B4: D86C0340 11000051
	ds_read_b32 v18, v81 offset:896                            // 00000000A0BC: D86C0380 12000051
	ds_read_b32 v19, v81 offset:960                            // 00000000A0C4: D86C03C0 13000051
	s_waitcnt lgkmcnt(0)                                       // 00000000A0CC: BF8CC07F
	s_barrier                                                  // 00000000A0D0: BF8A0000
	v_max3_f32 v78, |v4|, |v5|, v78                            // 00000000A0D4: D1D3034E 053A0B04
	v_max3_f32 v78, |v6|, |v7|, v78                            // 00000000A0DC: D1D3034E 053A0F06
	v_max3_f32 v78, |v8|, |v9|, v78                            // 00000000A0E4: D1D3034E 053A1308
	v_max3_f32 v78, |v10|, |v11|, v78                          // 00000000A0EC: D1D3034E 053A170A
	v_max3_f32 v78, |v12|, |v13|, v78                          // 00000000A0F4: D1D3034E 053A1B0C
	v_max3_f32 v78, |v14|, |v15|, v78                          // 00000000A0FC: D1D3034E 053A1F0E
	v_max3_f32 v78, |v16|, |v17|, v78                          // 00000000A104: D1D3034E 053A2310
	v_max3_f32 v78, |v18|, |v19|, v78                          // 00000000A10C: D1D3034E 053A2712
	v_rcp_f32_e32 v78, v78                                     // 00000000A114: 7E9C454E
	v_mov_b32_e32 v4, 0x43700000                               // 00000000A118: 7E0802FF 43700000
	v_mul_f32_e32 v78, v4, v78                                 // 00000000A120: 0A9C9D04
	v_mov_b32_e32 v4, v78                                      // 00000000A124: 7E08034E
	v_mov_b32_e32 v5, v4                                       // 00000000A128: 7E0A0304
	v_pk_mul_f32 v[60:61], v[4:5], v[60:61]                    // 00000000A12C: D3B1403C 18027904
	v_pk_mul_f32 v[62:63], v[4:5], v[62:63]                    // 00000000A134: D3B1403E 18027D04
	v_cvt_pk_fp8_f32 v60, v60, v61                             // 00000000A13C: D2A2003C 00027B3C
	v_cvt_pk_fp8_f32 v60, v62, v63 op_sel:[0,0,1]              // 00000000A144: D2A2403C 00027F3E
	v_pk_mul_f32 v[64:65], v[4:5], v[64:65]                    // 00000000A14C: D3B14040 18028104
	v_pk_mul_f32 v[66:67], v[4:5], v[66:67]                    // 00000000A154: D3B14042 18028504
	v_cvt_pk_fp8_f32 v64, v64, v65                             // 00000000A15C: D2A20040 00028340
	v_cvt_pk_fp8_f32 v64, v66, v67 op_sel:[0,0,1]              // 00000000A164: D2A24040 00028742
	v_rcp_f32_e32 v78, v78                                     // 00000000A16C: 7E9C454E
	v_mov_b32_e32 v79, 0x358637bd                              // 00000000A170: 7E9E02FF 358637BD
	v_max3_f32 v79, |v68|, |v69|, v79                          // 00000000A178: D1D3034F 053E8B44
	v_max3_f32 v79, |v70|, |v71|, v79                          // 00000000A180: D1D3034F 053E8F46
	v_max3_f32 v79, |v72|, |v73|, v79                          // 00000000A188: D1D3034F 053E9348
	v_max3_f32 v79, |v74|, |v75|, v79                          // 00000000A190: D1D3034F 053E974A
	ds_write_b32 v80, v79                                      // 00000000A198: D81A0000 00004F50
	s_waitcnt lgkmcnt(0)                                       // 00000000A1A0: BF8CC07F
	s_barrier                                                  // 00000000A1A4: BF8A0000
	ds_read_b32 v4, v81                                        // 00000000A1A8: D86C0000 04000051
	ds_read_b32 v5, v81 offset:64                              // 00000000A1B0: D86C0040 05000051
	ds_read_b32 v6, v81 offset:128                             // 00000000A1B8: D86C0080 06000051
	ds_read_b32 v7, v81 offset:192                             // 00000000A1C0: D86C00C0 07000051
	ds_read_b32 v8, v81 offset:256                             // 00000000A1C8: D86C0100 08000051
	ds_read_b32 v9, v81 offset:320                             // 00000000A1D0: D86C0140 09000051
	ds_read_b32 v10, v81 offset:384                            // 00000000A1D8: D86C0180 0A000051
	ds_read_b32 v11, v81 offset:448                            // 00000000A1E0: D86C01C0 0B000051
	ds_read_b32 v12, v81 offset:512                            // 00000000A1E8: D86C0200 0C000051
	ds_read_b32 v13, v81 offset:576                            // 00000000A1F0: D86C0240 0D000051
	ds_read_b32 v14, v81 offset:640                            // 00000000A1F8: D86C0280 0E000051
	ds_read_b32 v15, v81 offset:704                            // 00000000A200: D86C02C0 0F000051
	ds_read_b32 v16, v81 offset:768                            // 00000000A208: D86C0300 10000051
	ds_read_b32 v17, v81 offset:832                            // 00000000A210: D86C0340 11000051
	ds_read_b32 v18, v81 offset:896                            // 00000000A218: D86C0380 12000051
	ds_read_b32 v19, v81 offset:960                            // 00000000A220: D86C03C0 13000051
	s_waitcnt lgkmcnt(0)                                       // 00000000A228: BF8CC07F
	s_barrier                                                  // 00000000A22C: BF8A0000
	v_max3_f32 v79, |v4|, |v5|, v79                            // 00000000A230: D1D3034F 053E0B04
	v_max3_f32 v79, |v6|, |v7|, v79                            // 00000000A238: D1D3034F 053E0F06
	v_max3_f32 v79, |v8|, |v9|, v79                            // 00000000A240: D1D3034F 053E1308
	v_max3_f32 v79, |v10|, |v11|, v79                          // 00000000A248: D1D3034F 053E170A
	v_max3_f32 v79, |v12|, |v13|, v79                          // 00000000A250: D1D3034F 053E1B0C
	v_max3_f32 v79, |v14|, |v15|, v79                          // 00000000A258: D1D3034F 053E1F0E
	v_max3_f32 v79, |v16|, |v17|, v79                          // 00000000A260: D1D3034F 053E2310
	v_max3_f32 v79, |v18|, |v19|, v79                          // 00000000A268: D1D3034F 053E2712
	v_rcp_f32_e32 v79, v79                                     // 00000000A270: 7E9E454F
	v_mov_b32_e32 v4, 0x43700000                               // 00000000A274: 7E0802FF 43700000
	v_mul_f32_e32 v79, v4, v79                                 // 00000000A27C: 0A9E9F04
	v_mov_b32_e32 v4, v79                                      // 00000000A280: 7E08034F
	v_mov_b32_e32 v5, v4                                       // 00000000A284: 7E0A0304
	v_pk_mul_f32 v[68:69], v[4:5], v[68:69]                    // 00000000A288: D3B14044 18028904
	v_pk_mul_f32 v[70:71], v[4:5], v[70:71]                    // 00000000A290: D3B14046 18028D04
	v_cvt_pk_fp8_f32 v68, v68, v69                             // 00000000A298: D2A20044 00028B44
	v_cvt_pk_fp8_f32 v68, v70, v71 op_sel:[0,0,1]              // 00000000A2A0: D2A24044 00028F46
	v_pk_mul_f32 v[72:73], v[4:5], v[72:73]                    // 00000000A2A8: D3B14048 18029104
	v_pk_mul_f32 v[74:75], v[4:5], v[74:75]                    // 00000000A2B0: D3B1404A 18029504
	v_cvt_pk_fp8_f32 v72, v72, v73                             // 00000000A2B8: D2A20048 00029348
	v_cvt_pk_fp8_f32 v72, v74, v75 op_sel:[0,0,1]              // 00000000A2C0: D2A24048 0002974A
	v_rcp_f32_e32 v79, v79                                     // 00000000A2C8: 7E9E454F
	v_lshrrev_b32_e32 v4, 5, v0                                // 00000000A2CC: 20080085
	v_mul_lo_u32 v20, 34, v4                                   // 00000000A2D0: D2850014 000208A2
	v_and_b32_e32 v4, 31, v0                                   // 00000000A2D8: 2608009F
	v_lshrrev_b32_e32 v5, 4, v4                                // 00000000A2DC: 200A0884
	v_add_u32_e32 v20, v5, v20                                 // 00000000A2E0: 68282905
	v_and_b32_e32 v4, 15, v0                                   // 00000000A2E4: 2608008F
	v_mul_lo_u32 v5, 2, v4                                     // 00000000A2E8: D2850005 00020882
	v_add_u32_e32 v20, v5, v20                                 // 00000000A2F0: 68282905
	s_mul_i32 s60, s7, 0x44                                    // 00000000A2F4: 923CFF07 00000044
	v_add_u32_e32 v20, s60, v20                                // 00000000A2FC: 6828283C
	v_lshlrev_b32_e32 v20, 2, v20                              // 00000000A300: 24282882
	ds_write_b32 v20, v44                                      // 00000000A304: D81A0000 00002C14
	ds_write_b32 v20, v48 offset:1088                          // 00000000A30C: D81A0440 00003014
	ds_write_b32 v20, v52 offset:2176                          // 00000000A314: D81A0880 00003414
	ds_write_b32 v20, v56 offset:3264                          // 00000000A31C: D81A0CC0 00003814
	ds_write_b32 v20, v60 offset:4352                          // 00000000A324: D81A1100 00003C14
	ds_write_b32 v20, v64 offset:5440                          // 00000000A32C: D81A1540 00004014
	ds_write_b32 v20, v68 offset:6528                          // 00000000A334: D81A1980 00004414
	ds_write_b32 v20, v72 offset:7616                          // 00000000A33C: D81A1DC0 00004814
	v_lshrrev_b32_e32 v4, 5, v0                                // 00000000A344: 20080085
	v_xor_b32_e32 v5, 1, v4                                    // 00000000A348: 2A0A0881
	s_mul_i32 s60, s65, 1                                      // 00000000A34C: 923C8141
	s_cmp_eq_u32 s88, 0                                        // 00000000A350: BF068058
	s_cselect_b32 s61, 1, 8                                    // 00000000A354: 853D8881
	s_mul_i32 s60, s61, s60                                    // 00000000A358: 923C3C3D
	v_readlane_b32 s82, v3, 0                                  // 00000000A35C: D2890052 00010103
	s_lshr_b32 s61, s82, 24                                    // 00000000A364: 8F3D9852
	s_and_b32 s82, s82, 0xffffff                               // 00000000A368: 8652FF52 00FFFFFF
	s_mul_i32 s82, s82, s71                                    // 00000000A370: 92524752
	s_mul_i32 s61, s60, s61                                    // 00000000A374: 923D3D3C
	s_add_u32 s82, s82, s61                                    // 00000000A378: 80523D52
	v_mul_lo_u32 v6, v5, s82                                   // 00000000A37C: D2850006 0000A505
	v_readlane_b32 s82, v3, 1                                  // 00000000A384: D2890052 00010303
	s_lshr_b32 s61, s82, 24                                    // 00000000A38C: 8F3D9852
	s_and_b32 s82, s82, 0xffffff                               // 00000000A390: 8652FF52 00FFFFFF
	s_mul_i32 s82, s82, s71                                    // 00000000A398: 92524752
	s_mul_i32 s61, s60, s61                                    // 00000000A39C: 923D3D3C
	s_add_u32 s82, s82, s61                                    // 00000000A3A0: 80523D52
	v_mul_lo_u32 v7, v4, s82                                   // 00000000A3A4: D2850007 0000A504
	v_add_u32_e32 v34, v6, v7                                  // 00000000A3AC: 68440F06
	v_readlane_b32 s82, v3, 2                                  // 00000000A3B0: D2890052 00010503
	s_lshr_b32 s61, s82, 24                                    // 00000000A3B8: 8F3D9852
	s_and_b32 s82, s82, 0xffffff                               // 00000000A3BC: 8652FF52 00FFFFFF
	s_mul_i32 s82, s82, s71                                    // 00000000A3C4: 92524752
	s_mul_i32 s61, s60, s61                                    // 00000000A3C8: 923D3D3C
	s_add_u32 s82, s82, s61                                    // 00000000A3CC: 80523D52
	v_mul_lo_u32 v6, v5, s82                                   // 00000000A3D0: D2850006 0000A505
	v_readlane_b32 s82, v3, 3                                  // 00000000A3D8: D2890052 00010703
	s_lshr_b32 s61, s82, 24                                    // 00000000A3E0: 8F3D9852
	s_and_b32 s82, s82, 0xffffff                               // 00000000A3E4: 8652FF52 00FFFFFF
	s_mul_i32 s82, s82, s71                                    // 00000000A3EC: 92524752
	s_mul_i32 s61, s60, s61                                    // 00000000A3F0: 923D3D3C
	s_add_u32 s82, s82, s61                                    // 00000000A3F4: 80523D52
	v_mul_lo_u32 v7, v4, s82                                   // 00000000A3F8: D2850007 0000A504
	v_add_u32_e32 v35, v6, v7                                  // 00000000A400: 68460F06
	v_and_b32_e32 v4, 31, v0                                   // 00000000A404: 2608009F
	v_lshrrev_b32_e32 v4, 1, v4                                // 00000000A408: 20080881
	s_cmp_eq_u32 s88, 0                                        // 00000000A40C: BF068058
	s_cselect_b32 s61, 2, 4                                    // 00000000A410: 853D8482
	v_mul_lo_u32 v4, v4, s61                                   // 00000000A414: D2850004 00007B04
	v_and_b32_e64 v5, v0, 1                                    // 00000000A41C: D1130005 00010300
	v_add_u32_e32 v4, v4, v5                                   // 00000000A424: 68080B04
	v_lshlrev_b32_e32 v4, 2, v4                                // 00000000A428: 24080882
	v_add_u32_e32 v34, v34, v4                                 // 00000000A42C: 68440922
	v_add_u32_e32 v35, v35, v4                                 // 00000000A430: 68460923
	s_waitcnt lgkmcnt(0)                                       // 00000000A434: BF8CC07F
	s_barrier                                                  // 00000000A438: BF8A0000
	ds_read_b32 v44, v21                                       // 00000000A43C: D86C0000 2C000015
	ds_read_b32 v45, v21 offset:64                             // 00000000A444: D86C0040 2D000015
	ds_read_b32 v46, v21 offset:2176                           // 00000000A44C: D86C0880 2E000015
	ds_read_b32 v47, v21 offset:2240                           // 00000000A454: D86C08C0 2F000015
	ds_read_b32 v48, v21 offset:4352                           // 00000000A45C: D86C1100 30000015
	ds_read_b32 v49, v21 offset:4416                           // 00000000A464: D86C1140 31000015
	ds_read_b32 v50, v21 offset:6528                           // 00000000A46C: D86C1980 32000015
	ds_read_b32 v51, v21 offset:6592                           // 00000000A474: D86C19C0 33000015
	s_waitcnt lgkmcnt(0)                                       // 00000000A47C: BF8CC07F
	s_mov_b32 s36, -1                                          // 00000000A480: BEA400C1
	s_mov_b32 s37, -1                                          // 00000000A484: BEA500C1
	v_mov_b32_e32 v7, 0                                        // 00000000A488: 7E0E0280
	s_or_b32 s9, s9, 0x40000                                   // 00000000A48C: 8709FF09 00040000
	s_mov_b64 exec, s[36:37]                                   // 00000000A494: BEFE0124
	v_mov_b32_e32 v6, v34                                      // 00000000A498: 7E0C0322
	s_mov_b64 s[60:61], 0                                      // 00000000A49C: BEBC0180
	v_readlane_b32 s82, v3, 0                                  // 00000000A4A0: D2890052 00010103
	s_and_b32 s82, s82, 0xffffff                               // 00000000A4A8: 8652FF52 00FFFFFF
	s_cmp_lt_u32 s82, s66                                      // 00000000A4B0: BF0A4252
	s_cselect_b32 s20, s36, s60                                // 00000000A4B4: 85143C24
	v_readlane_b32 s82, v3, 1                                  // 00000000A4B8: D2890052 00010303
	s_and_b32 s82, s82, 0xffffff                               // 00000000A4C0: 8652FF52 00FFFFFF
	s_cmp_lt_u32 s82, s66                                      // 00000000A4C8: BF0A4252
	s_cselect_b32 s21, s36, s60                                // 00000000A4CC: 85153C24
	s_mov_b64 exec, s[20:21]                                   // 00000000A4D0: BEFE0114
	buffer_store_dword v44, v6, s[8:11], 0 offen               // 00000000A4D4: E0701000 80022C06
	buffer_store_dword v46, v6, s[8:11], 0 offen offset:128    // 00000000A4DC: E0701080 80022E06
	buffer_store_dword v48, v6, s[8:11], 0 offen offset:256    // 00000000A4E4: E0701100 80023006
	buffer_store_dword v50, v6, s[8:11], 0 offen offset:384    // 00000000A4EC: E0701180 80023206
	s_mov_b64 exec, s[36:37]                                   // 00000000A4F4: BEFE0124
	v_mov_b32_e32 v6, v35                                      // 00000000A4F8: 7E0C0323
	s_mov_b64 s[60:61], 0                                      // 00000000A4FC: BEBC0180
	v_readlane_b32 s82, v3, 2                                  // 00000000A500: D2890052 00010503
	s_and_b32 s82, s82, 0xffffff                               // 00000000A508: 8652FF52 00FFFFFF
	s_cmp_lt_u32 s82, s66                                      // 00000000A510: BF0A4252
	s_cselect_b32 s20, s36, s60                                // 00000000A514: 85143C24
	v_readlane_b32 s82, v3, 3                                  // 00000000A518: D2890052 00010703
	s_and_b32 s82, s82, 0xffffff                               // 00000000A520: 8652FF52 00FFFFFF
	s_cmp_lt_u32 s82, s66                                      // 00000000A528: BF0A4252
	s_cselect_b32 s21, s36, s60                                // 00000000A52C: 85153C24
	s_mov_b64 exec, s[20:21]                                   // 00000000A530: BEFE0114
	buffer_store_dword v45, v6, s[8:11], 0 offen               // 00000000A534: E0701000 80022D06
	buffer_store_dword v47, v6, s[8:11], 0 offen offset:128    // 00000000A53C: E0701080 80022F06
	buffer_store_dword v49, v6, s[8:11], 0 offen offset:256    // 00000000A544: E0701100 80023106
	buffer_store_dword v51, v6, s[8:11], 0 offen offset:384    // 00000000A54C: E0701180 80023306
	s_mov_b64 exec, s[36:37]                                   // 00000000A554: BEFE0124
	s_cmp_eq_u32 s7, 0                                         // 00000000A558: BF068007
	s_cbranch_scc0 label_2111                                  // 00000000A55C: BF840236
	s_waitcnt vmcnt(8)                                         // 00000000A560: BF8C0F78
	s_mov_b32 s8, s90                                          // 00000000A564: BE88005A
	s_mov_b32 s9, s91                                          // 00000000A568: BE89005B
	s_mul_i32 s60, s66, s71                                    // 00000000A56C: 923C4742
	s_add_u32 s8, s60, s8                                      // 00000000A570: 8008083C
	s_addc_u32 s9, 0, s9                                       // 00000000A574: 82090980
	s_lshr_b32 s71, s71, 5                                     // 00000000A578: 8F478547
	s_mul_i32 s60, s66, s71                                    // 00000000A57C: 923C4742
	s_mov_b32 s10, s60                                         // 00000000A580: BE8A003C
	s_lshr_b32 s61, s65, 5                                     // 00000000A584: 8F3D8541
	s_mul_i32 s60, s2, 16                                      // 00000000A588: 923C9002
	v_lshrrev_b32_e32 v4, 24, v30                              // 00000000A58C: 20083C98
	v_mul_lo_u32 v4, s61, v4                                   // 00000000A590: D2850004 0002083D
	v_and_b32_e32 v30, 0xffffff, v30                           // 00000000A598: 263C3CFF 00FFFFFF
	v_mul_lo_u32 v30, s71, v30                                 // 00000000A5A0: D285001E 00023C47
	v_add_u32_e32 v30, v4, v30                                 // 00000000A5A8: 683C3D04
	v_add_u32_e32 v30, s60, v30                                // 00000000A5AC: 683C3C3C
	s_mov_b64 exec, 0xffff                                     // 00000000A5B0: BEFE01FF 0000FFFF
	buffer_store_dword v76, v30, s[8:11], 0 offen              // 00000000A5B8: E0701000 80024C1E
	buffer_store_dword v77, v30, s[8:11], 0 offen offset:4     // 00000000A5C0: E0701004 80024D1E
	buffer_store_dword v78, v30, s[8:11], 0 offen offset:8     // 00000000A5C8: E0701008 80024E1E
	buffer_store_dword v79, v30, s[8:11], 0 offen offset:12    // 00000000A5D0: E070100C 80024F1E
	s_mov_b64 exec, s[36:37]                                   // 00000000A5D8: BEFE0124
	s_branch label_2111                                        // 00000000A5DC: BF820216

000000000000a5e0 <label_1EFB>:
	ds_write_b64 v20, v[44:45]                                 // 00000000A5E0: D89A0000 00002C14
	ds_write_b64 v20, v[48:49] offset:2176                     // 00000000A5E8: D89A0880 00003014
	ds_write_b64 v20, v[52:53] offset:4352                     // 00000000A5F0: D89A1100 00003414
	ds_write_b64 v20, v[56:57] offset:6528                     // 00000000A5F8: D89A1980 00003814
	ds_write_b64 v20, v[60:61] offset:8704                     // 00000000A600: D89A2200 00003C14
	ds_write_b64 v20, v[64:65] offset:10880                    // 00000000A608: D89A2A80 00004014
	ds_write_b64 v20, v[68:69] offset:13056                    // 00000000A610: D89A3300 00004414
	ds_write_b64 v20, v[72:73] offset:15232                    // 00000000A618: D89A3B80 00004814
	v_lshrrev_b32_e32 v4, 5, v0                                // 00000000A620: 20080085
	v_xor_b32_e32 v5, 1, v4                                    // 00000000A624: 2A0A0881
	s_mul_i32 s60, s65, 1                                      // 00000000A628: 923C8141
	s_cmp_eq_u32 s88, 0                                        // 00000000A62C: BF068058
	s_cselect_b32 s61, 1, 8                                    // 00000000A630: 853D8881
	s_mul_i32 s60, s61, s60                                    // 00000000A634: 923C3C3D
	v_readlane_b32 s82, v3, 0                                  // 00000000A638: D2890052 00010103
	s_lshr_b32 s61, s82, 24                                    // 00000000A640: 8F3D9852
	s_and_b32 s82, s82, 0xffffff                               // 00000000A644: 8652FF52 00FFFFFF
	s_mul_i32 s82, s82, s71                                    // 00000000A64C: 92524752
	s_mul_i32 s61, s60, s61                                    // 00000000A650: 923D3D3C
	s_add_u32 s82, s82, s61                                    // 00000000A654: 80523D52
	v_mul_lo_u32 v6, v5, s82                                   // 00000000A658: D2850006 0000A505
	v_readlane_b32 s82, v3, 1                                  // 00000000A660: D2890052 00010303
	s_lshr_b32 s61, s82, 24                                    // 00000000A668: 8F3D9852
	s_and_b32 s82, s82, 0xffffff                               // 00000000A66C: 8652FF52 00FFFFFF
	s_mul_i32 s82, s82, s71                                    // 00000000A674: 92524752
	s_mul_i32 s61, s60, s61                                    // 00000000A678: 923D3D3C
	s_add_u32 s82, s82, s61                                    // 00000000A67C: 80523D52
	v_mul_lo_u32 v7, v4, s82                                   // 00000000A680: D2850007 0000A504
	v_add_u32_e32 v34, v6, v7                                  // 00000000A688: 68440F06
	v_readlane_b32 s82, v3, 2                                  // 00000000A68C: D2890052 00010503
	s_lshr_b32 s61, s82, 24                                    // 00000000A694: 8F3D9852
	s_and_b32 s82, s82, 0xffffff                               // 00000000A698: 8652FF52 00FFFFFF
	s_mul_i32 s82, s82, s71                                    // 00000000A6A0: 92524752
	s_mul_i32 s61, s60, s61                                    // 00000000A6A4: 923D3D3C
	s_add_u32 s82, s82, s61                                    // 00000000A6A8: 80523D52
	v_mul_lo_u32 v6, v5, s82                                   // 00000000A6AC: D2850006 0000A505
	v_readlane_b32 s82, v3, 3                                  // 00000000A6B4: D2890052 00010703
	s_lshr_b32 s61, s82, 24                                    // 00000000A6BC: 8F3D9852
	s_and_b32 s82, s82, 0xffffff                               // 00000000A6C0: 8652FF52 00FFFFFF
	s_mul_i32 s82, s82, s71                                    // 00000000A6C8: 92524752
	s_mul_i32 s61, s60, s61                                    // 00000000A6CC: 923D3D3C
	s_add_u32 s82, s82, s61                                    // 00000000A6D0: 80523D52
	v_mul_lo_u32 v7, v4, s82                                   // 00000000A6D4: D2850007 0000A504
	v_add_u32_e32 v35, v6, v7                                  // 00000000A6DC: 68460F06
	v_and_b32_e32 v4, 31, v0                                   // 00000000A6E0: 2608009F
	v_lshrrev_b32_e32 v4, 1, v4                                // 00000000A6E4: 20080881
	s_cmp_eq_u32 s88, 0                                        // 00000000A6E8: BF068058
	s_cselect_b32 s61, 2, 4                                    // 00000000A6EC: 853D8482
	v_mul_lo_u32 v4, v4, s61                                   // 00000000A6F0: D2850004 00007B04
	v_and_b32_e64 v5, v0, 1                                    // 00000000A6F8: D1130005 00010300
	v_add_u32_e32 v4, v4, v5                                   // 00000000A700: 68080B04
	v_lshlrev_b32_e32 v4, 2, v4                                // 00000000A704: 24080882
	v_add_u32_e32 v34, v34, v4                                 // 00000000A708: 68440922
	v_add_u32_e32 v35, v35, v4                                 // 00000000A70C: 68460923
	s_waitcnt lgkmcnt(0)                                       // 00000000A710: BF8CC07F
	s_barrier                                                  // 00000000A714: BF8A0000
	ds_read_b32 v44, v21                                       // 00000000A718: D86C0000 2C000015
	ds_read_b32 v45, v21 offset:64                             // 00000000A720: D86C0040 2D000015
	ds_read_b32 v48, v21 offset:2176                           // 00000000A728: D86C0880 30000015
	ds_read_b32 v49, v21 offset:2240                           // 00000000A730: D86C08C0 31000015
	ds_read_b32 v52, v21 offset:4352                           // 00000000A738: D86C1100 34000015
	ds_read_b32 v53, v21 offset:4416                           // 00000000A740: D86C1140 35000015
	ds_read_b32 v56, v21 offset:6528                           // 00000000A748: D86C1980 38000015
	ds_read_b32 v57, v21 offset:6592                           // 00000000A750: D86C19C0 39000015
	ds_read_b32 v60, v21 offset:8704                           // 00000000A758: D86C2200 3C000015
	ds_read_b32 v61, v21 offset:8768                           // 00000000A760: D86C2240 3D000015
	ds_read_b32 v64, v21 offset:10880                          // 00000000A768: D86C2A80 40000015
	ds_read_b32 v65, v21 offset:10944                          // 00000000A770: D86C2AC0 41000015
	ds_read_b32 v68, v21 offset:13056                          // 00000000A778: D86C3300 44000015
	ds_read_b32 v69, v21 offset:13120                          // 00000000A780: D86C3340 45000015
	ds_read_b32 v72, v21 offset:15232                          // 00000000A788: D86C3B80 48000015
	ds_read_b32 v73, v21 offset:15296                          // 00000000A790: D86C3BC0 49000015
	s_waitcnt lgkmcnt(0)                                       // 00000000A798: BF8CC07F
	s_mov_b32 s36, -1                                          // 00000000A79C: BEA400C1
	s_mov_b32 s37, -1                                          // 00000000A7A0: BEA500C1
	v_mov_b32_e32 v7, 0                                        // 00000000A7A4: 7E0E0280
	s_mov_b64 exec, s[36:37]                                   // 00000000A7A8: BEFE0124
	v_mov_b32_e32 v6, v34                                      // 00000000A7AC: 7E0C0322
	s_mov_b64 s[60:61], 0                                      // 00000000A7B0: BEBC0180
	v_readlane_b32 s82, v3, 0                                  // 00000000A7B4: D2890052 00010103
	s_and_b32 s82, s82, 0xffffff                               // 00000000A7BC: 8652FF52 00FFFFFF
	s_cmp_lt_u32 s82, s66                                      // 00000000A7C4: BF0A4252
	s_cselect_b32 s20, s36, s60                                // 00000000A7C8: 85143C24
	v_readlane_b32 s82, v3, 1                                  // 00000000A7CC: D2890052 00010303
	s_and_b32 s82, s82, 0xffffff                               // 00000000A7D4: 8652FF52 00FFFFFF
	s_cmp_lt_u32 s82, s66                                      // 00000000A7DC: BF0A4252
	s_cselect_b32 s21, s36, s60                                // 00000000A7E0: 85153C24
	s_mov_b64 exec, s[20:21]                                   // 00000000A7E4: BEFE0114
	global_atomic_add_f32 v6, v44, s[8:9]                      // 00000000A7E8: DD348000 00082C06
	global_atomic_add_f32 v6, v48, s[8:9] offset:256           // 00000000A7F0: DD348100 00083006
	global_atomic_add_f32 v6, v52, s[8:9] offset:512           // 00000000A7F8: DD348200 00083406
	global_atomic_add_f32 v6, v56, s[8:9] offset:768           // 00000000A800: DD348300 00083806
	global_atomic_add_f32 v6, v60, s[8:9] offset:1024          // 00000000A808: DD348400 00083C06
	global_atomic_add_f32 v6, v64, s[8:9] offset:1280          // 00000000A810: DD348500 00084006
	global_atomic_add_f32 v6, v68, s[8:9] offset:1536          // 00000000A818: DD348600 00084406
	global_atomic_add_f32 v6, v72, s[8:9] offset:1792          // 00000000A820: DD348700 00084806
	s_mov_b64 exec, s[36:37]                                   // 00000000A828: BEFE0124
	v_mov_b32_e32 v6, v35                                      // 00000000A82C: 7E0C0323
	s_mov_b64 s[60:61], 0                                      // 00000000A830: BEBC0180
	v_readlane_b32 s82, v3, 2                                  // 00000000A834: D2890052 00010503
	s_and_b32 s82, s82, 0xffffff                               // 00000000A83C: 8652FF52 00FFFFFF
	s_cmp_lt_u32 s82, s66                                      // 00000000A844: BF0A4252
	s_cselect_b32 s20, s36, s60                                // 00000000A848: 85143C24
	v_readlane_b32 s82, v3, 3                                  // 00000000A84C: D2890052 00010703
	s_and_b32 s82, s82, 0xffffff                               // 00000000A854: 8652FF52 00FFFFFF
	s_cmp_lt_u32 s82, s66                                      // 00000000A85C: BF0A4252
	s_cselect_b32 s21, s36, s60                                // 00000000A860: 85153C24
	s_mov_b64 exec, s[20:21]                                   // 00000000A864: BEFE0114
	global_atomic_add_f32 v6, v45, s[8:9]                      // 00000000A868: DD348000 00082D06
	global_atomic_add_f32 v6, v49, s[8:9] offset:256           // 00000000A870: DD348100 00083106
	global_atomic_add_f32 v6, v53, s[8:9] offset:512           // 00000000A878: DD348200 00083506
	global_atomic_add_f32 v6, v57, s[8:9] offset:768           // 00000000A880: DD348300 00083906
	global_atomic_add_f32 v6, v61, s[8:9] offset:1024          // 00000000A888: DD348400 00083D06
	global_atomic_add_f32 v6, v65, s[8:9] offset:1280          // 00000000A890: DD348500 00084106
	global_atomic_add_f32 v6, v69, s[8:9] offset:1536          // 00000000A898: DD348600 00084506
	global_atomic_add_f32 v6, v73, s[8:9] offset:1792          // 00000000A8A0: DD348700 00084906
	s_mov_b64 exec, s[36:37]                                   // 00000000A8A8: BEFE0124
	ds_write_b64 v20, v[46:47]                                 // 00000000A8AC: D89A0000 00002E14
	ds_write_b64 v20, v[50:51] offset:2176                     // 00000000A8B4: D89A0880 00003214
	ds_write_b64 v20, v[54:55] offset:4352                     // 00000000A8BC: D89A1100 00003614
	ds_write_b64 v20, v[58:59] offset:6528                     // 00000000A8C4: D89A1980 00003A14
	ds_write_b64 v20, v[62:63] offset:8704                     // 00000000A8CC: D89A2200 00003E14
	ds_write_b64 v20, v[66:67] offset:10880                    // 00000000A8D4: D89A2A80 00004214
	ds_write_b64 v20, v[70:71] offset:13056                    // 00000000A8DC: D89A3300 00004614
	ds_write_b64 v20, v[74:75] offset:15232                    // 00000000A8E4: D89A3B80 00004A14
	s_waitcnt lgkmcnt(0)                                       // 00000000A8EC: BF8CC07F
	s_barrier                                                  // 00000000A8F0: BF8A0000
	ds_read_b32 v46, v21                                       // 00000000A8F4: D86C0000 2E000015
	ds_read_b32 v47, v21 offset:64                             // 00000000A8FC: D86C0040 2F000015
	ds_read_b32 v50, v21 offset:2176                           // 00000000A904: D86C0880 32000015
	ds_read_b32 v51, v21 offset:2240                           // 00000000A90C: D86C08C0 33000015
	ds_read_b32 v54, v21 offset:4352                           // 00000000A914: D86C1100 36000015
	ds_read_b32 v55, v21 offset:4416                           // 00000000A91C: D86C1140 37000015
	ds_read_b32 v58, v21 offset:6528                           // 00000000A924: D86C1980 3A000015
	ds_read_b32 v59, v21 offset:6592                           // 00000000A92C: D86C19C0 3B000015
	ds_read_b32 v62, v21 offset:8704                           // 00000000A934: D86C2200 3E000015
	ds_read_b32 v63, v21 offset:8768                           // 00000000A93C: D86C2240 3F000015
	ds_read_b32 v66, v21 offset:10880                          // 00000000A944: D86C2A80 42000015
	ds_read_b32 v67, v21 offset:10944                          // 00000000A94C: D86C2AC0 43000015
	ds_read_b32 v70, v21 offset:13056                          // 00000000A954: D86C3300 46000015
	ds_read_b32 v71, v21 offset:13120                          // 00000000A95C: D86C3340 47000015
	ds_read_b32 v74, v21 offset:15232                          // 00000000A964: D86C3B80 4A000015
	ds_read_b32 v75, v21 offset:15296                          // 00000000A96C: D86C3BC0 4B000015
	s_waitcnt lgkmcnt(0)                                       // 00000000A974: BF8CC07F
	v_mov_b32_e32 v7, 0                                        // 00000000A978: 7E0E0280
	s_mov_b64 exec, s[36:37]                                   // 00000000A97C: BEFE0124
	v_mov_b32_e32 v6, v34                                      // 00000000A980: 7E0C0322
	s_mov_b64 s[60:61], 0                                      // 00000000A984: BEBC0180
	v_readlane_b32 s82, v3, 0                                  // 00000000A988: D2890052 00010103
	s_and_b32 s82, s82, 0xffffff                               // 00000000A990: 8652FF52 00FFFFFF
	s_cmp_lt_u32 s82, s66                                      // 00000000A998: BF0A4252
	s_cselect_b32 s20, s36, s60                                // 00000000A99C: 85143C24
	v_readlane_b32 s82, v3, 1                                  // 00000000A9A0: D2890052 00010303
	s_and_b32 s82, s82, 0xffffff                               // 00000000A9A8: 8652FF52 00FFFFFF
	s_cmp_lt_u32 s82, s66                                      // 00000000A9B0: BF0A4252
	s_cselect_b32 s21, s36, s60                                // 00000000A9B4: 85153C24
	s_mov_b64 exec, s[20:21]                                   // 00000000A9B8: BEFE0114
	global_atomic_add_f32 v6, v46, s[8:9] offset:8             // 00000000A9BC: DD348008 00082E06
	global_atomic_add_f32 v6, v50, s[8:9] offset:264           // 00000000A9C4: DD348108 00083206
	global_atomic_add_f32 v6, v54, s[8:9] offset:520           // 00000000A9CC: DD348208 00083606
	global_atomic_add_f32 v6, v58, s[8:9] offset:776           // 00000000A9D4: DD348308 00083A06
	global_atomic_add_f32 v6, v62, s[8:9] offset:1032          // 00000000A9DC: DD348408 00083E06
	global_atomic_add_f32 v6, v66, s[8:9] offset:1288          // 00000000A9E4: DD348508 00084206
	global_atomic_add_f32 v6, v70, s[8:9] offset:1544          // 00000000A9EC: DD348608 00084606
	global_atomic_add_f32 v6, v74, s[8:9] offset:1800          // 00000000A9F4: DD348708 00084A06
	s_mov_b64 exec, s[36:37]                                   // 00000000A9FC: BEFE0124
	v_mov_b32_e32 v6, v35                                      // 00000000AA00: 7E0C0323
	s_mov_b64 s[60:61], 0                                      // 00000000AA04: BEBC0180
	v_readlane_b32 s82, v3, 2                                  // 00000000AA08: D2890052 00010503
	s_and_b32 s82, s82, 0xffffff                               // 00000000AA10: 8652FF52 00FFFFFF
	s_cmp_lt_u32 s82, s66                                      // 00000000AA18: BF0A4252
	s_cselect_b32 s20, s36, s60                                // 00000000AA1C: 85143C24
	v_readlane_b32 s82, v3, 3                                  // 00000000AA20: D2890052 00010703
	s_and_b32 s82, s82, 0xffffff                               // 00000000AA28: 8652FF52 00FFFFFF
	s_cmp_lt_u32 s82, s66                                      // 00000000AA30: BF0A4252
	s_cselect_b32 s21, s36, s60                                // 00000000AA34: 85153C24
	s_mov_b64 exec, s[20:21]                                   // 00000000AA38: BEFE0114
	global_atomic_add_f32 v6, v47, s[8:9] offset:8             // 00000000AA3C: DD348008 00082F06
	global_atomic_add_f32 v6, v51, s[8:9] offset:264           // 00000000AA44: DD348108 00083306
	global_atomic_add_f32 v6, v55, s[8:9] offset:520           // 00000000AA4C: DD348208 00083706
	global_atomic_add_f32 v6, v59, s[8:9] offset:776           // 00000000AA54: DD348308 00083B06
	global_atomic_add_f32 v6, v63, s[8:9] offset:1032          // 00000000AA5C: DD348408 00083F06
	global_atomic_add_f32 v6, v67, s[8:9] offset:1288          // 00000000AA64: DD348508 00084306
	global_atomic_add_f32 v6, v71, s[8:9] offset:1544          // 00000000AA6C: DD348608 00084706
	global_atomic_add_f32 v6, v75, s[8:9] offset:1800          // 00000000AA74: DD348708 00084B06
	s_mov_b64 exec, s[36:37]                                   // 00000000AA7C: BEFE0124
	ds_write_b64 v20, v[76:77]                                 // 00000000AA80: D89A0000 00004C14
	ds_write_b64 v20, v[80:81] offset:2176                     // 00000000AA88: D89A0880 00005014
	ds_write_b64 v20, v[84:85] offset:4352                     // 00000000AA90: D89A1100 00005414
	ds_write_b64 v20, v[88:89] offset:6528                     // 00000000AA98: D89A1980 00005814
	ds_write_b64 v20, v[92:93] offset:8704                     // 00000000AAA0: D89A2200 00005C14
	ds_write_b64 v20, v[96:97] offset:10880                    // 00000000AAA8: D89A2A80 00006014
	ds_write_b64 v20, v[100:101] offset:13056                  // 00000000AAB0: D89A3300 00006414
	ds_write_b64 v20, v[104:105] offset:15232                  // 00000000AAB8: D89A3B80 00006814
	s_waitcnt lgkmcnt(0)                                       // 00000000AAC0: BF8CC07F
	s_barrier                                                  // 00000000AAC4: BF8A0000
	ds_read_b32 v76, v21                                       // 00000000AAC8: D86C0000 4C000015
	ds_read_b32 v77, v21 offset:64                             // 00000000AAD0: D86C0040 4D000015
	ds_read_b32 v80, v21 offset:2176                           // 00000000AAD8: D86C0880 50000015
	ds_read_b32 v81, v21 offset:2240                           // 00000000AAE0: D86C08C0 51000015
	ds_read_b32 v84, v21 offset:4352                           // 00000000AAE8: D86C1100 54000015
	ds_read_b32 v85, v21 offset:4416                           // 00000000AAF0: D86C1140 55000015
	ds_read_b32 v88, v21 offset:6528                           // 00000000AAF8: D86C1980 58000015
	ds_read_b32 v89, v21 offset:6592                           // 00000000AB00: D86C19C0 59000015
	ds_read_b32 v92, v21 offset:8704                           // 00000000AB08: D86C2200 5C000015
	ds_read_b32 v93, v21 offset:8768                           // 00000000AB10: D86C2240 5D000015
	ds_read_b32 v96, v21 offset:10880                          // 00000000AB18: D86C2A80 60000015
	ds_read_b32 v97, v21 offset:10944                          // 00000000AB20: D86C2AC0 61000015
	ds_read_b32 v100, v21 offset:13056                         // 00000000AB28: D86C3300 64000015
	ds_read_b32 v101, v21 offset:13120                         // 00000000AB30: D86C3340 65000015
	ds_read_b32 v104, v21 offset:15232                         // 00000000AB38: D86C3B80 68000015
	ds_read_b32 v105, v21 offset:15296                         // 00000000AB40: D86C3BC0 69000015
	s_mul_i32 s60, s65, 4                                      // 00000000AB48: 923C8441
	s_add_u32 s8, s60, s8                                      // 00000000AB4C: 8008083C
	s_addc_u32 s9, 0, s9                                       // 00000000AB50: 82090980
	s_waitcnt lgkmcnt(0)                                       // 00000000AB54: BF8CC07F
	v_mov_b32_e32 v7, 0                                        // 00000000AB58: 7E0E0280
	s_mov_b64 exec, s[36:37]                                   // 00000000AB5C: BEFE0124
	v_mov_b32_e32 v6, v34                                      // 00000000AB60: 7E0C0322
	s_mov_b64 s[60:61], 0                                      // 00000000AB64: BEBC0180
	v_readlane_b32 s82, v3, 0                                  // 00000000AB68: D2890052 00010103
	s_and_b32 s82, s82, 0xffffff                               // 00000000AB70: 8652FF52 00FFFFFF
	s_cmp_lt_u32 s82, s66                                      // 00000000AB78: BF0A4252
	s_cselect_b32 s20, s36, s60                                // 00000000AB7C: 85143C24
	v_readlane_b32 s82, v3, 1                                  // 00000000AB80: D2890052 00010303
	s_and_b32 s82, s82, 0xffffff                               // 00000000AB88: 8652FF52 00FFFFFF
	s_cmp_lt_u32 s82, s66                                      // 00000000AB90: BF0A4252
	s_cselect_b32 s21, s36, s60                                // 00000000AB94: 85153C24
	s_mov_b64 exec, s[20:21]                                   // 00000000AB98: BEFE0114
	global_atomic_add_f32 v6, v76, s[8:9]                      // 00000000AB9C: DD348000 00084C06
	global_atomic_add_f32 v6, v80, s[8:9] offset:256           // 00000000ABA4: DD348100 00085006
	global_atomic_add_f32 v6, v84, s[8:9] offset:512           // 00000000ABAC: DD348200 00085406
	global_atomic_add_f32 v6, v88, s[8:9] offset:768           // 00000000ABB4: DD348300 00085806
	global_atomic_add_f32 v6, v92, s[8:9] offset:1024          // 00000000ABBC: DD348400 00085C06
	global_atomic_add_f32 v6, v96, s[8:9] offset:1280          // 00000000ABC4: DD348500 00086006
	global_atomic_add_f32 v6, v100, s[8:9] offset:1536         // 00000000ABCC: DD348600 00086406
	global_atomic_add_f32 v6, v104, s[8:9] offset:1792         // 00000000ABD4: DD348700 00086806
	s_mov_b64 exec, s[36:37]                                   // 00000000ABDC: BEFE0124
	v_mov_b32_e32 v6, v35                                      // 00000000ABE0: 7E0C0323
	s_mov_b64 s[60:61], 0                                      // 00000000ABE4: BEBC0180
	v_readlane_b32 s82, v3, 2                                  // 00000000ABE8: D2890052 00010503
	s_and_b32 s82, s82, 0xffffff                               // 00000000ABF0: 8652FF52 00FFFFFF
	s_cmp_lt_u32 s82, s66                                      // 00000000ABF8: BF0A4252
	s_cselect_b32 s20, s36, s60                                // 00000000ABFC: 85143C24
	v_readlane_b32 s82, v3, 3                                  // 00000000AC00: D2890052 00010703
	s_and_b32 s82, s82, 0xffffff                               // 00000000AC08: 8652FF52 00FFFFFF
	s_cmp_lt_u32 s82, s66                                      // 00000000AC10: BF0A4252
	s_cselect_b32 s21, s36, s60                                // 00000000AC14: 85153C24
	s_mov_b64 exec, s[20:21]                                   // 00000000AC18: BEFE0114
	global_atomic_add_f32 v6, v77, s[8:9]                      // 00000000AC1C: DD348000 00084D06
	global_atomic_add_f32 v6, v81, s[8:9] offset:256           // 00000000AC24: DD348100 00085106
	global_atomic_add_f32 v6, v85, s[8:9] offset:512           // 00000000AC2C: DD348200 00085506
	global_atomic_add_f32 v6, v89, s[8:9] offset:768           // 00000000AC34: DD348300 00085906
	global_atomic_add_f32 v6, v93, s[8:9] offset:1024          // 00000000AC3C: DD348400 00085D06
	global_atomic_add_f32 v6, v97, s[8:9] offset:1280          // 00000000AC44: DD348500 00086106
	global_atomic_add_f32 v6, v101, s[8:9] offset:1536         // 00000000AC4C: DD348600 00086506
	global_atomic_add_f32 v6, v105, s[8:9] offset:1792         // 00000000AC54: DD348700 00086906
	s_mov_b64 exec, s[36:37]                                   // 00000000AC5C: BEFE0124
	ds_write_b64 v20, v[78:79]                                 // 00000000AC60: D89A0000 00004E14
	ds_write_b64 v20, v[82:83] offset:2176                     // 00000000AC68: D89A0880 00005214
	ds_write_b64 v20, v[86:87] offset:4352                     // 00000000AC70: D89A1100 00005614
	ds_write_b64 v20, v[90:91] offset:6528                     // 00000000AC78: D89A1980 00005A14
	ds_write_b64 v20, v[94:95] offset:8704                     // 00000000AC80: D89A2200 00005E14
	ds_write_b64 v20, v[98:99] offset:10880                    // 00000000AC88: D89A2A80 00006214
	ds_write_b64 v20, v[102:103] offset:13056                  // 00000000AC90: D89A3300 00006614
	ds_write_b64 v20, v[106:107] offset:15232                  // 00000000AC98: D89A3B80 00006A14
	s_waitcnt lgkmcnt(0)                                       // 00000000ACA0: BF8CC07F
	s_barrier                                                  // 00000000ACA4: BF8A0000
	ds_read_b32 v78, v21                                       // 00000000ACA8: D86C0000 4E000015
	ds_read_b32 v79, v21 offset:64                             // 00000000ACB0: D86C0040 4F000015
	ds_read_b32 v82, v21 offset:2176                           // 00000000ACB8: D86C0880 52000015
	ds_read_b32 v83, v21 offset:2240                           // 00000000ACC0: D86C08C0 53000015
	ds_read_b32 v86, v21 offset:4352                           // 00000000ACC8: D86C1100 56000015
	ds_read_b32 v87, v21 offset:4416                           // 00000000ACD0: D86C1140 57000015
	ds_read_b32 v90, v21 offset:6528                           // 00000000ACD8: D86C1980 5A000015
	ds_read_b32 v91, v21 offset:6592                           // 00000000ACE0: D86C19C0 5B000015
	ds_read_b32 v94, v21 offset:8704                           // 00000000ACE8: D86C2200 5E000015
	ds_read_b32 v95, v21 offset:8768                           // 00000000ACF0: D86C2240 5F000015
	ds_read_b32 v98, v21 offset:10880                          // 00000000ACF8: D86C2A80 62000015
	ds_read_b32 v99, v21 offset:10944                          // 00000000AD00: D86C2AC0 63000015
	ds_read_b32 v102, v21 offset:13056                         // 00000000AD08: D86C3300 66000015
	ds_read_b32 v103, v21 offset:13120                         // 00000000AD10: D86C3340 67000015
	ds_read_b32 v106, v21 offset:15232                         // 00000000AD18: D86C3B80 6A000015
	ds_read_b32 v107, v21 offset:15296                         // 00000000AD20: D86C3BC0 6B000015
	s_waitcnt lgkmcnt(0)                                       // 00000000AD28: BF8CC07F
	v_mov_b32_e32 v7, 0                                        // 00000000AD2C: 7E0E0280
	s_mov_b64 exec, s[36:37]                                   // 00000000AD30: BEFE0124
	v_mov_b32_e32 v6, v34                                      // 00000000AD34: 7E0C0322
	s_mov_b64 s[60:61], 0                                      // 00000000AD38: BEBC0180
	v_readlane_b32 s82, v3, 0                                  // 00000000AD3C: D2890052 00010103
	s_and_b32 s82, s82, 0xffffff                               // 00000000AD44: 8652FF52 00FFFFFF
	s_cmp_lt_u32 s82, s66                                      // 00000000AD4C: BF0A4252
	s_cselect_b32 s20, s36, s60                                // 00000000AD50: 85143C24
	v_readlane_b32 s82, v3, 1                                  // 00000000AD54: D2890052 00010303
	s_and_b32 s82, s82, 0xffffff                               // 00000000AD5C: 8652FF52 00FFFFFF
	s_cmp_lt_u32 s82, s66                                      // 00000000AD64: BF0A4252
	s_cselect_b32 s21, s36, s60                                // 00000000AD68: 85153C24
	s_mov_b64 exec, s[20:21]                                   // 00000000AD6C: BEFE0114
	global_atomic_add_f32 v6, v78, s[8:9] offset:8             // 00000000AD70: DD348008 00084E06
	global_atomic_add_f32 v6, v82, s[8:9] offset:264           // 00000000AD78: DD348108 00085206
	global_atomic_add_f32 v6, v86, s[8:9] offset:520           // 00000000AD80: DD348208 00085606
	global_atomic_add_f32 v6, v90, s[8:9] offset:776           // 00000000AD88: DD348308 00085A06
	global_atomic_add_f32 v6, v94, s[8:9] offset:1032          // 00000000AD90: DD348408 00085E06
	global_atomic_add_f32 v6, v98, s[8:9] offset:1288          // 00000000AD98: DD348508 00086206
	global_atomic_add_f32 v6, v102, s[8:9] offset:1544         // 00000000ADA0: DD348608 00086606
	global_atomic_add_f32 v6, v106, s[8:9] offset:1800         // 00000000ADA8: DD348708 00086A06
	s_mov_b64 exec, s[36:37]                                   // 00000000ADB0: BEFE0124
	v_mov_b32_e32 v6, v35                                      // 00000000ADB4: 7E0C0323
	s_mov_b64 s[60:61], 0                                      // 00000000ADB8: BEBC0180
	v_readlane_b32 s82, v3, 2                                  // 00000000ADBC: D2890052 00010503
	s_and_b32 s82, s82, 0xffffff                               // 00000000ADC4: 8652FF52 00FFFFFF
	s_cmp_lt_u32 s82, s66                                      // 00000000ADCC: BF0A4252
	s_cselect_b32 s20, s36, s60                                // 00000000ADD0: 85143C24
	v_readlane_b32 s82, v3, 3                                  // 00000000ADD4: D2890052 00010703
	s_and_b32 s82, s82, 0xffffff                               // 00000000ADDC: 8652FF52 00FFFFFF
	s_cmp_lt_u32 s82, s66                                      // 00000000ADE4: BF0A4252
	s_cselect_b32 s21, s36, s60                                // 00000000ADE8: 85153C24
	s_mov_b64 exec, s[20:21]                                   // 00000000ADEC: BEFE0114
	global_atomic_add_f32 v6, v79, s[8:9] offset:8             // 00000000ADF0: DD348008 00084F06
	global_atomic_add_f32 v6, v83, s[8:9] offset:264           // 00000000ADF8: DD348108 00085306
	global_atomic_add_f32 v6, v87, s[8:9] offset:520           // 00000000AE00: DD348208 00085706
	global_atomic_add_f32 v6, v91, s[8:9] offset:776           // 00000000AE08: DD348308 00085B06
	global_atomic_add_f32 v6, v95, s[8:9] offset:1032          // 00000000AE10: DD348408 00085F06
	global_atomic_add_f32 v6, v99, s[8:9] offset:1288          // 00000000AE18: DD348508 00086306
	global_atomic_add_f32 v6, v103, s[8:9] offset:1544         // 00000000AE20: DD348608 00086706
	global_atomic_add_f32 v6, v107, s[8:9] offset:1800         // 00000000AE28: DD348708 00086B06
	s_mov_b64 exec, s[36:37]                                   // 00000000AE30: BEFE0124
	s_branch label_2111                                        // 00000000AE34: BF820000

000000000000ae38 <label_2111>:
	s_waitcnt vmcnt(0) expcnt(0) lgkmcnt(0)                    // 00000000AE38: BF8C0000
	s_endpgm                                                   // 00000000AE3C: BF810000
